;; amdgpu-corpus repo=ROCm/rocBLAS kind=compiled arch=gfx906 opt=O3
	.amdgcn_target "amdgcn-amd-amdhsa--gfx906"
	.amdhsa_code_object_version 6
	.section	.text._ZL22rocblas_saxpy_2_kernelILi256EDF16_PKDF16_S1_PDF16_EviT1_lT2_llT3_lli,"axG",@progbits,_ZL22rocblas_saxpy_2_kernelILi256EDF16_PKDF16_S1_PDF16_EviT1_lT2_llT3_lli,comdat
	.globl	_ZL22rocblas_saxpy_2_kernelILi256EDF16_PKDF16_S1_PDF16_EviT1_lT2_llT3_lli ; -- Begin function _ZL22rocblas_saxpy_2_kernelILi256EDF16_PKDF16_S1_PDF16_EviT1_lT2_llT3_lli
	.p2align	8
	.type	_ZL22rocblas_saxpy_2_kernelILi256EDF16_PKDF16_S1_PDF16_EviT1_lT2_llT3_lli,@function
_ZL22rocblas_saxpy_2_kernelILi256EDF16_PKDF16_S1_PDF16_EviT1_lT2_llT3_lli: ; @_ZL22rocblas_saxpy_2_kernelILi256EDF16_PKDF16_S1_PDF16_EviT1_lT2_llT3_lli
; %bb.0:
	s_load_dwordx4 s[0:3], s[4:5], 0x8
	v_mov_b32_e32 v1, 0
	s_waitcnt lgkmcnt(0)
	s_mul_i32 s3, s3, s7
	s_mul_hi_u32 s8, s2, s7
	s_add_i32 s3, s8, s3
	s_mul_i32 s2, s2, s7
	s_lshl_b64 s[2:3], s[2:3], 1
	s_add_u32 s0, s0, s2
	s_addc_u32 s1, s1, s3
	global_load_ushort v4, v1, s[0:1]
	s_waitcnt vmcnt(0)
	v_cmp_eq_f16_e32 vcc, 0, v4
	s_cbranch_vccnz .LBB0_5
; %bb.1:
	s_load_dwordx2 s[10:11], s[4:5], 0x30
	s_load_dwordx4 s[0:3], s[4:5], 0x20
	s_load_dwordx2 s[16:17], s[4:5], 0x18
	s_load_dword s8, s[4:5], 0x0
	s_load_dwordx4 s[12:15], s[4:5], 0x38
	v_lshlrev_b32_e32 v0, 1, v0
	s_waitcnt lgkmcnt(0)
	s_mul_i32 s3, s3, s7
	s_mul_hi_u32 s4, s2, s7
	s_add_i32 s3, s4, s3
	s_mul_i32 s2, s2, s7
	s_lshl_b64 s[2:3], s[2:3], 1
	s_add_u32 s2, s16, s2
	s_addc_u32 s3, s17, s3
	s_lshl_b64 s[0:1], s[0:1], 1
	s_add_u32 s4, s2, s0
	s_addc_u32 s5, s3, s1
	s_mul_i32 s0, s15, s7
	s_mul_hi_u32 s1, s14, s7
	s_add_i32 s1, s1, s0
	s_mul_i32 s0, s14, s7
	s_lshl_b64 s[0:1], s[0:1], 1
	s_add_u32 s2, s10, s0
	s_addc_u32 s3, s11, s1
	s_lshl_b64 s[0:1], s[12:13], 1
	v_lshl_or_b32 v0, s6, 9, v0
	s_add_u32 s6, s2, s0
	s_addc_u32 s7, s3, s1
	s_add_i32 s0, s8, -1
	s_ashr_i32 s1, s0, 31
	v_cmp_gt_i64_e32 vcc, s[0:1], v[0:1]
	v_lshlrev_b64 v[2:3], 1, v[0:1]
	s_and_saveexec_b64 s[2:3], vcc
	s_cbranch_execz .LBB0_3
; %bb.2:
	v_mov_b32_e32 v6, s7
	v_add_co_u32_e32 v5, vcc, s6, v2
	v_addc_co_u32_e32 v6, vcc, v6, v3, vcc
	v_mov_b32_e32 v8, s5
	v_add_co_u32_e32 v7, vcc, s4, v2
	v_addc_co_u32_e32 v8, vcc, v8, v3, vcc
	global_load_dword v9, v[5:6], off
	global_load_dword v10, v[7:8], off
	s_waitcnt vmcnt(0)
	v_pk_fma_f16 v7, v4, v10, v9 op_sel_hi:[0,1,1]
	global_store_dword v[5:6], v7, off
.LBB0_3:
	s_or_b64 exec, exec, s[2:3]
	s_bitcmp1_b32 s8, 0
	v_cmp_eq_u64_e32 vcc, s[0:1], v[0:1]
	s_cselect_b64 s[0:1], -1, 0
	s_and_b64 s[0:1], s[0:1], vcc
	s_and_saveexec_b64 s[2:3], s[0:1]
	s_cbranch_execz .LBB0_5
; %bb.4:
	v_mov_b32_e32 v1, s7
	v_add_co_u32_e32 v0, vcc, s6, v2
	v_addc_co_u32_e32 v1, vcc, v1, v3, vcc
	v_mov_b32_e32 v6, s5
	v_add_co_u32_e32 v2, vcc, s4, v2
	v_addc_co_u32_e32 v3, vcc, v6, v3, vcc
	global_load_ushort v5, v[0:1], off
	s_nop 0
	global_load_ushort v2, v[2:3], off
	s_waitcnt vmcnt(0)
	v_fma_f16 v2, v4, v2, v5
	global_store_short v[0:1], v2, off
.LBB0_5:
	s_endpgm
	.section	.rodata,"a",@progbits
	.p2align	6, 0x0
	.amdhsa_kernel _ZL22rocblas_saxpy_2_kernelILi256EDF16_PKDF16_S1_PDF16_EviT1_lT2_llT3_lli
		.amdhsa_group_segment_fixed_size 0
		.amdhsa_private_segment_fixed_size 0
		.amdhsa_kernarg_size 76
		.amdhsa_user_sgpr_count 6
		.amdhsa_user_sgpr_private_segment_buffer 1
		.amdhsa_user_sgpr_dispatch_ptr 0
		.amdhsa_user_sgpr_queue_ptr 0
		.amdhsa_user_sgpr_kernarg_segment_ptr 1
		.amdhsa_user_sgpr_dispatch_id 0
		.amdhsa_user_sgpr_flat_scratch_init 0
		.amdhsa_user_sgpr_private_segment_size 0
		.amdhsa_uses_dynamic_stack 0
		.amdhsa_system_sgpr_private_segment_wavefront_offset 0
		.amdhsa_system_sgpr_workgroup_id_x 1
		.amdhsa_system_sgpr_workgroup_id_y 0
		.amdhsa_system_sgpr_workgroup_id_z 1
		.amdhsa_system_sgpr_workgroup_info 0
		.amdhsa_system_vgpr_workitem_id 0
		.amdhsa_next_free_vgpr 11
		.amdhsa_next_free_sgpr 18
		.amdhsa_reserve_vcc 1
		.amdhsa_reserve_flat_scratch 0
		.amdhsa_float_round_mode_32 0
		.amdhsa_float_round_mode_16_64 0
		.amdhsa_float_denorm_mode_32 3
		.amdhsa_float_denorm_mode_16_64 3
		.amdhsa_dx10_clamp 1
		.amdhsa_ieee_mode 1
		.amdhsa_fp16_overflow 0
		.amdhsa_exception_fp_ieee_invalid_op 0
		.amdhsa_exception_fp_denorm_src 0
		.amdhsa_exception_fp_ieee_div_zero 0
		.amdhsa_exception_fp_ieee_overflow 0
		.amdhsa_exception_fp_ieee_underflow 0
		.amdhsa_exception_fp_ieee_inexact 0
		.amdhsa_exception_int_div_zero 0
	.end_amdhsa_kernel
	.section	.text._ZL22rocblas_saxpy_2_kernelILi256EDF16_PKDF16_S1_PDF16_EviT1_lT2_llT3_lli,"axG",@progbits,_ZL22rocblas_saxpy_2_kernelILi256EDF16_PKDF16_S1_PDF16_EviT1_lT2_llT3_lli,comdat
.Lfunc_end0:
	.size	_ZL22rocblas_saxpy_2_kernelILi256EDF16_PKDF16_S1_PDF16_EviT1_lT2_llT3_lli, .Lfunc_end0-_ZL22rocblas_saxpy_2_kernelILi256EDF16_PKDF16_S1_PDF16_EviT1_lT2_llT3_lli
                                        ; -- End function
	.set _ZL22rocblas_saxpy_2_kernelILi256EDF16_PKDF16_S1_PDF16_EviT1_lT2_llT3_lli.num_vgpr, 11
	.set _ZL22rocblas_saxpy_2_kernelILi256EDF16_PKDF16_S1_PDF16_EviT1_lT2_llT3_lli.num_agpr, 0
	.set _ZL22rocblas_saxpy_2_kernelILi256EDF16_PKDF16_S1_PDF16_EviT1_lT2_llT3_lli.numbered_sgpr, 18
	.set _ZL22rocblas_saxpy_2_kernelILi256EDF16_PKDF16_S1_PDF16_EviT1_lT2_llT3_lli.num_named_barrier, 0
	.set _ZL22rocblas_saxpy_2_kernelILi256EDF16_PKDF16_S1_PDF16_EviT1_lT2_llT3_lli.private_seg_size, 0
	.set _ZL22rocblas_saxpy_2_kernelILi256EDF16_PKDF16_S1_PDF16_EviT1_lT2_llT3_lli.uses_vcc, 1
	.set _ZL22rocblas_saxpy_2_kernelILi256EDF16_PKDF16_S1_PDF16_EviT1_lT2_llT3_lli.uses_flat_scratch, 0
	.set _ZL22rocblas_saxpy_2_kernelILi256EDF16_PKDF16_S1_PDF16_EviT1_lT2_llT3_lli.has_dyn_sized_stack, 0
	.set _ZL22rocblas_saxpy_2_kernelILi256EDF16_PKDF16_S1_PDF16_EviT1_lT2_llT3_lli.has_recursion, 0
	.set _ZL22rocblas_saxpy_2_kernelILi256EDF16_PKDF16_S1_PDF16_EviT1_lT2_llT3_lli.has_indirect_call, 0
	.section	.AMDGPU.csdata,"",@progbits
; Kernel info:
; codeLenInByte = 384
; TotalNumSgprs: 22
; NumVgprs: 11
; ScratchSize: 0
; MemoryBound: 0
; FloatMode: 240
; IeeeMode: 1
; LDSByteSize: 0 bytes/workgroup (compile time only)
; SGPRBlocks: 2
; VGPRBlocks: 2
; NumSGPRsForWavesPerEU: 22
; NumVGPRsForWavesPerEU: 11
; Occupancy: 10
; WaveLimiterHint : 0
; COMPUTE_PGM_RSRC2:SCRATCH_EN: 0
; COMPUTE_PGM_RSRC2:USER_SGPR: 6
; COMPUTE_PGM_RSRC2:TRAP_HANDLER: 0
; COMPUTE_PGM_RSRC2:TGID_X_EN: 1
; COMPUTE_PGM_RSRC2:TGID_Y_EN: 0
; COMPUTE_PGM_RSRC2:TGID_Z_EN: 1
; COMPUTE_PGM_RSRC2:TIDIG_COMP_CNT: 0
	.section	.text._ZL22rocblas_saxpy_2_kernelILi256EDF16_DF16_PKDF16_PDF16_EviT1_lT2_llT3_lli,"axG",@progbits,_ZL22rocblas_saxpy_2_kernelILi256EDF16_DF16_PKDF16_PDF16_EviT1_lT2_llT3_lli,comdat
	.globl	_ZL22rocblas_saxpy_2_kernelILi256EDF16_DF16_PKDF16_PDF16_EviT1_lT2_llT3_lli ; -- Begin function _ZL22rocblas_saxpy_2_kernelILi256EDF16_DF16_PKDF16_PDF16_EviT1_lT2_llT3_lli
	.p2align	8
	.type	_ZL22rocblas_saxpy_2_kernelILi256EDF16_DF16_PKDF16_PDF16_EviT1_lT2_llT3_lli,@function
_ZL22rocblas_saxpy_2_kernelILi256EDF16_DF16_PKDF16_PDF16_EviT1_lT2_llT3_lli: ; @_ZL22rocblas_saxpy_2_kernelILi256EDF16_DF16_PKDF16_PDF16_EviT1_lT2_llT3_lli
; %bb.0:
	s_load_dwordx2 s[0:1], s[4:5], 0x0
	s_waitcnt lgkmcnt(0)
	v_cmp_eq_f16_e64 s[2:3], s1, 0
	s_and_b64 vcc, exec, s[2:3]
	s_cbranch_vccnz .LBB1_5
; %bb.1:
	s_load_dwordx2 s[2:3], s[4:5], 0x10
	s_load_dwordx4 s[8:11], s[4:5], 0x18
	s_load_dwordx2 s[16:17], s[4:5], 0x28
	s_load_dwordx4 s[12:15], s[4:5], 0x30
	v_lshlrev_b32_e32 v0, 1, v0
	v_lshl_or_b32 v0, s6, 9, v0
	s_waitcnt lgkmcnt(0)
	s_mul_i32 s4, s11, s7
	s_mul_hi_u32 s5, s10, s7
	s_add_i32 s5, s5, s4
	s_mul_i32 s4, s10, s7
	s_lshl_b64 s[4:5], s[4:5], 1
	s_add_u32 s4, s2, s4
	s_addc_u32 s5, s3, s5
	s_lshl_b64 s[2:3], s[8:9], 1
	s_add_u32 s6, s4, s2
	s_addc_u32 s8, s5, s3
	s_mul_i32 s2, s15, s7
	s_mul_hi_u32 s3, s14, s7
	s_add_i32 s3, s3, s2
	s_mul_i32 s2, s14, s7
	s_lshl_b64 s[2:3], s[2:3], 1
	s_add_u32 s4, s16, s2
	s_addc_u32 s5, s17, s3
	s_lshl_b64 s[2:3], s[12:13], 1
	s_add_u32 s7, s4, s2
	s_addc_u32 s9, s5, s3
	s_add_i32 s2, s0, -1
	v_mov_b32_e32 v1, 0
	s_ashr_i32 s3, s2, 31
	v_cmp_gt_i64_e32 vcc, s[2:3], v[0:1]
	v_lshlrev_b64 v[2:3], 1, v[0:1]
	s_and_saveexec_b64 s[4:5], vcc
	s_cbranch_execz .LBB1_3
; %bb.2:
	v_mov_b32_e32 v5, s9
	v_add_co_u32_e32 v4, vcc, s7, v2
	v_addc_co_u32_e32 v5, vcc, v5, v3, vcc
	v_mov_b32_e32 v7, s8
	v_add_co_u32_e32 v6, vcc, s6, v2
	v_addc_co_u32_e32 v7, vcc, v7, v3, vcc
	global_load_dword v8, v[4:5], off
	global_load_dword v9, v[6:7], off
	s_waitcnt vmcnt(0)
	v_pk_fma_f16 v6, s1, v9, v8 op_sel_hi:[0,1,1]
	global_store_dword v[4:5], v6, off
.LBB1_3:
	s_or_b64 exec, exec, s[4:5]
	s_bitcmp1_b32 s0, 0
	v_cmp_eq_u64_e32 vcc, s[2:3], v[0:1]
	s_cselect_b64 s[2:3], -1, 0
	s_and_b64 s[2:3], s[2:3], vcc
	s_and_saveexec_b64 s[4:5], s[2:3]
	s_cbranch_execz .LBB1_5
; %bb.4:
	v_mov_b32_e32 v1, s9
	v_add_co_u32_e32 v0, vcc, s7, v2
	v_addc_co_u32_e32 v1, vcc, v1, v3, vcc
	v_mov_b32_e32 v5, s8
	v_add_co_u32_e32 v2, vcc, s6, v2
	v_addc_co_u32_e32 v3, vcc, v5, v3, vcc
	global_load_ushort v4, v[0:1], off
	s_nop 0
	global_load_ushort v2, v[2:3], off
	s_waitcnt vmcnt(0)
	v_fma_f16 v2, s1, v2, v4
	global_store_short v[0:1], v2, off
.LBB1_5:
	s_endpgm
	.section	.rodata,"a",@progbits
	.p2align	6, 0x0
	.amdhsa_kernel _ZL22rocblas_saxpy_2_kernelILi256EDF16_DF16_PKDF16_PDF16_EviT1_lT2_llT3_lli
		.amdhsa_group_segment_fixed_size 0
		.amdhsa_private_segment_fixed_size 0
		.amdhsa_kernarg_size 68
		.amdhsa_user_sgpr_count 6
		.amdhsa_user_sgpr_private_segment_buffer 1
		.amdhsa_user_sgpr_dispatch_ptr 0
		.amdhsa_user_sgpr_queue_ptr 0
		.amdhsa_user_sgpr_kernarg_segment_ptr 1
		.amdhsa_user_sgpr_dispatch_id 0
		.amdhsa_user_sgpr_flat_scratch_init 0
		.amdhsa_user_sgpr_private_segment_size 0
		.amdhsa_uses_dynamic_stack 0
		.amdhsa_system_sgpr_private_segment_wavefront_offset 0
		.amdhsa_system_sgpr_workgroup_id_x 1
		.amdhsa_system_sgpr_workgroup_id_y 0
		.amdhsa_system_sgpr_workgroup_id_z 1
		.amdhsa_system_sgpr_workgroup_info 0
		.amdhsa_system_vgpr_workitem_id 0
		.amdhsa_next_free_vgpr 10
		.amdhsa_next_free_sgpr 18
		.amdhsa_reserve_vcc 1
		.amdhsa_reserve_flat_scratch 0
		.amdhsa_float_round_mode_32 0
		.amdhsa_float_round_mode_16_64 0
		.amdhsa_float_denorm_mode_32 3
		.amdhsa_float_denorm_mode_16_64 3
		.amdhsa_dx10_clamp 1
		.amdhsa_ieee_mode 1
		.amdhsa_fp16_overflow 0
		.amdhsa_exception_fp_ieee_invalid_op 0
		.amdhsa_exception_fp_denorm_src 0
		.amdhsa_exception_fp_ieee_div_zero 0
		.amdhsa_exception_fp_ieee_overflow 0
		.amdhsa_exception_fp_ieee_underflow 0
		.amdhsa_exception_fp_ieee_inexact 0
		.amdhsa_exception_int_div_zero 0
	.end_amdhsa_kernel
	.section	.text._ZL22rocblas_saxpy_2_kernelILi256EDF16_DF16_PKDF16_PDF16_EviT1_lT2_llT3_lli,"axG",@progbits,_ZL22rocblas_saxpy_2_kernelILi256EDF16_DF16_PKDF16_PDF16_EviT1_lT2_llT3_lli,comdat
.Lfunc_end1:
	.size	_ZL22rocblas_saxpy_2_kernelILi256EDF16_DF16_PKDF16_PDF16_EviT1_lT2_llT3_lli, .Lfunc_end1-_ZL22rocblas_saxpy_2_kernelILi256EDF16_DF16_PKDF16_PDF16_EviT1_lT2_llT3_lli
                                        ; -- End function
	.set _ZL22rocblas_saxpy_2_kernelILi256EDF16_DF16_PKDF16_PDF16_EviT1_lT2_llT3_lli.num_vgpr, 10
	.set _ZL22rocblas_saxpy_2_kernelILi256EDF16_DF16_PKDF16_PDF16_EviT1_lT2_llT3_lli.num_agpr, 0
	.set _ZL22rocblas_saxpy_2_kernelILi256EDF16_DF16_PKDF16_PDF16_EviT1_lT2_llT3_lli.numbered_sgpr, 18
	.set _ZL22rocblas_saxpy_2_kernelILi256EDF16_DF16_PKDF16_PDF16_EviT1_lT2_llT3_lli.num_named_barrier, 0
	.set _ZL22rocblas_saxpy_2_kernelILi256EDF16_DF16_PKDF16_PDF16_EviT1_lT2_llT3_lli.private_seg_size, 0
	.set _ZL22rocblas_saxpy_2_kernelILi256EDF16_DF16_PKDF16_PDF16_EviT1_lT2_llT3_lli.uses_vcc, 1
	.set _ZL22rocblas_saxpy_2_kernelILi256EDF16_DF16_PKDF16_PDF16_EviT1_lT2_llT3_lli.uses_flat_scratch, 0
	.set _ZL22rocblas_saxpy_2_kernelILi256EDF16_DF16_PKDF16_PDF16_EviT1_lT2_llT3_lli.has_dyn_sized_stack, 0
	.set _ZL22rocblas_saxpy_2_kernelILi256EDF16_DF16_PKDF16_PDF16_EviT1_lT2_llT3_lli.has_recursion, 0
	.set _ZL22rocblas_saxpy_2_kernelILi256EDF16_DF16_PKDF16_PDF16_EviT1_lT2_llT3_lli.has_indirect_call, 0
	.section	.AMDGPU.csdata,"",@progbits
; Kernel info:
; codeLenInByte = 344
; TotalNumSgprs: 22
; NumVgprs: 10
; ScratchSize: 0
; MemoryBound: 0
; FloatMode: 240
; IeeeMode: 1
; LDSByteSize: 0 bytes/workgroup (compile time only)
; SGPRBlocks: 2
; VGPRBlocks: 2
; NumSGPRsForWavesPerEU: 22
; NumVGPRsForWavesPerEU: 10
; Occupancy: 10
; WaveLimiterHint : 0
; COMPUTE_PGM_RSRC2:SCRATCH_EN: 0
; COMPUTE_PGM_RSRC2:USER_SGPR: 6
; COMPUTE_PGM_RSRC2:TRAP_HANDLER: 0
; COMPUTE_PGM_RSRC2:TGID_X_EN: 1
; COMPUTE_PGM_RSRC2:TGID_Y_EN: 0
; COMPUTE_PGM_RSRC2:TGID_Z_EN: 1
; COMPUTE_PGM_RSRC2:TIDIG_COMP_CNT: 0
	.section	.text._ZL27rocblas_axpy_kernel_batchedIiLi128ELi8EDF16_PKDF16_S1_PDF16_EviT3_lT4_lT_lT5_lS5_li,"axG",@progbits,_ZL27rocblas_axpy_kernel_batchedIiLi128ELi8EDF16_PKDF16_S1_PDF16_EviT3_lT4_lT_lT5_lS5_li,comdat
	.globl	_ZL27rocblas_axpy_kernel_batchedIiLi128ELi8EDF16_PKDF16_S1_PDF16_EviT3_lT4_lT_lT5_lS5_li ; -- Begin function _ZL27rocblas_axpy_kernel_batchedIiLi128ELi8EDF16_PKDF16_S1_PDF16_EviT3_lT4_lT_lT5_lS5_li
	.p2align	8
	.type	_ZL27rocblas_axpy_kernel_batchedIiLi128ELi8EDF16_PKDF16_S1_PDF16_EviT3_lT4_lT_lT5_lS5_li,@function
_ZL27rocblas_axpy_kernel_batchedIiLi128ELi8EDF16_PKDF16_S1_PDF16_EviT3_lT4_lT_lT5_lS5_li: ; @_ZL27rocblas_axpy_kernel_batchedIiLi128ELi8EDF16_PKDF16_S1_PDF16_EviT3_lT4_lT_lT5_lS5_li
; %bb.0:
	s_load_dword s0, s[4:5], 0x0
	v_lshl_add_u32 v2, s6, 7, v0
	v_mov_b32_e32 v3, 0
	s_waitcnt lgkmcnt(0)
	s_ashr_i32 s1, s0, 31
	v_cmp_gt_i64_e32 vcc, s[0:1], v[2:3]
	s_and_saveexec_b64 s[0:1], vcc
	s_cbranch_execz .LBB2_13
; %bb.1:
	s_load_dword s20, s[4:5], 0x28
	s_load_dwordx8 s[8:15], s[4:5], 0x8
	s_load_dwordx4 s[0:3], s[4:5], 0x30
	s_load_dwordx2 s[18:19], s[4:5], 0x40
	s_load_dword s22, s[4:5], 0x48
	s_load_dwordx2 s[16:17], s[4:5], 0x50
	s_load_dword s6, s[4:5], 0x58
	s_waitcnt lgkmcnt(0)
	v_mad_u64_u32 v[5:6], s[4:5], s20, v2, 0
	v_mad_u64_u32 v[7:8], s[4:5], s22, v2, 0
	s_ashr_i32 s21, s20, 31
	v_mov_b32_e32 v0, v6
	v_mad_u64_u32 v[3:4], s[4:5], s21, v2, v[0:1]
	s_ashr_i32 s20, s22, 31
	v_mov_b32_e32 v0, v8
	v_mad_u64_u32 v[8:9], s[4:5], s20, v2, v[0:1]
	v_lshlrev_b32_e32 v0, 2, v1
	v_mov_b32_e32 v6, v3
	s_lshl_b64 s[4:5], s[14:15], 1
	v_lshl_add_u32 v4, s7, 5, v0
	s_add_u32 s4, s12, s4
	v_lshlrev_b64 v[0:1], 1, v[5:6]
	s_addc_u32 s5, s13, s5
	v_mov_b32_e32 v2, s5
	v_add_co_u32_e32 v0, vcc, s4, v0
	s_lshl_b64 s[4:5], s[18:19], 1
	v_addc_co_u32_e32 v1, vcc, v2, v1, vcc
	s_add_u32 s2, s2, s4
	v_lshlrev_b64 v[2:3], 1, v[7:8]
	s_addc_u32 s3, s3, s5
	v_mov_b32_e32 v5, s3
	v_add_co_u32_e32 v2, vcc, s2, v2
	v_addc_co_u32_e32 v3, vcc, v5, v3, vcc
	v_cmp_gt_u32_e32 vcc, s6, v4
	s_and_saveexec_b64 s[2:3], vcc
	s_cbranch_execz .LBB2_4
; %bb.2:
	v_mad_u64_u32 v[5:6], s[4:5], s10, v4, 0
	v_mad_u64_u32 v[6:7], s[4:5], s11, v4, v[6:7]
	v_mov_b32_e32 v7, s9
	v_lshlrev_b64 v[5:6], 1, v[5:6]
	v_add_co_u32_e32 v5, vcc, s8, v5
	v_addc_co_u32_e32 v6, vcc, v7, v6, vcc
	global_load_ushort v5, v[5:6], off
	s_waitcnt vmcnt(0)
	v_cmp_neq_f16_e32 vcc, 0, v5
	s_and_b64 exec, exec, vcc
	s_cbranch_execz .LBB2_4
; %bb.3:
	v_mad_u64_u32 v[6:7], s[4:5], s0, v4, 0
	v_mad_u64_u32 v[8:9], s[4:5], s16, v4, 0
	v_mad_u64_u32 v[10:11], s[4:5], s1, v4, v[7:8]
	v_mov_b32_e32 v7, v10
	v_mad_u64_u32 v[9:10], s[4:5], s17, v4, v[9:10]
	v_lshlrev_b64 v[6:7], 1, v[6:7]
	v_add_co_u32_e32 v6, vcc, v0, v6
	v_lshlrev_b64 v[8:9], 1, v[8:9]
	v_addc_co_u32_e32 v7, vcc, v1, v7, vcc
	v_add_co_u32_e32 v8, vcc, v2, v8
	v_addc_co_u32_e32 v9, vcc, v3, v9, vcc
	global_load_ushort v10, v[8:9], off
	global_load_ushort v11, v[6:7], off
	s_waitcnt vmcnt(0)
	v_fma_f16 v5, v5, v11, v10
	global_store_short v[8:9], v5, off
.LBB2_4:
	s_or_b64 exec, exec, s[2:3]
	v_or_b32_e32 v5, 1, v4
	v_cmp_gt_u32_e32 vcc, s6, v5
	s_and_saveexec_b64 s[2:3], vcc
	s_cbranch_execz .LBB2_7
; %bb.5:
	v_mad_u64_u32 v[6:7], s[4:5], s10, v5, 0
	v_mad_u64_u32 v[7:8], s[4:5], s11, v5, v[7:8]
	v_mov_b32_e32 v8, s9
	v_lshlrev_b64 v[6:7], 1, v[6:7]
	v_add_co_u32_e32 v6, vcc, s8, v6
	v_addc_co_u32_e32 v7, vcc, v8, v7, vcc
	global_load_ushort v6, v[6:7], off
	s_waitcnt vmcnt(0)
	v_cmp_neq_f16_e32 vcc, 0, v6
	s_and_b64 exec, exec, vcc
	s_cbranch_execz .LBB2_7
; %bb.6:
	v_mad_u64_u32 v[7:8], s[4:5], s0, v5, 0
	v_mad_u64_u32 v[9:10], s[4:5], s16, v5, 0
	v_mad_u64_u32 v[11:12], s[4:5], s1, v5, v[8:9]
	v_mov_b32_e32 v8, v11
	v_mad_u64_u32 v[10:11], s[4:5], s17, v5, v[10:11]
	v_lshlrev_b64 v[7:8], 1, v[7:8]
	v_add_co_u32_e32 v7, vcc, v0, v7
	v_lshlrev_b64 v[9:10], 1, v[9:10]
	v_addc_co_u32_e32 v8, vcc, v1, v8, vcc
	v_add_co_u32_e32 v9, vcc, v2, v9
	v_addc_co_u32_e32 v10, vcc, v3, v10, vcc
	global_load_ushort v5, v[9:10], off
	global_load_ushort v11, v[7:8], off
	s_waitcnt vmcnt(0)
	v_fma_f16 v5, v6, v11, v5
	global_store_short v[9:10], v5, off
.LBB2_7:
	s_or_b64 exec, exec, s[2:3]
	v_or_b32_e32 v5, 2, v4
	v_cmp_gt_u32_e32 vcc, s6, v5
	s_and_saveexec_b64 s[2:3], vcc
	s_cbranch_execz .LBB2_10
; %bb.8:
	v_mad_u64_u32 v[6:7], s[4:5], s10, v5, 0
	v_mad_u64_u32 v[7:8], s[4:5], s11, v5, v[7:8]
	v_mov_b32_e32 v8, s9
	v_lshlrev_b64 v[6:7], 1, v[6:7]
	v_add_co_u32_e32 v6, vcc, s8, v6
	v_addc_co_u32_e32 v7, vcc, v8, v7, vcc
	global_load_ushort v6, v[6:7], off
	s_waitcnt vmcnt(0)
	v_cmp_neq_f16_e32 vcc, 0, v6
	s_and_b64 exec, exec, vcc
	s_cbranch_execz .LBB2_10
; %bb.9:
	v_mad_u64_u32 v[7:8], s[4:5], s0, v5, 0
	v_mad_u64_u32 v[9:10], s[4:5], s16, v5, 0
	v_mad_u64_u32 v[11:12], s[4:5], s1, v5, v[8:9]
	v_mov_b32_e32 v8, v11
	v_mad_u64_u32 v[10:11], s[4:5], s17, v5, v[10:11]
	v_lshlrev_b64 v[7:8], 1, v[7:8]
	v_add_co_u32_e32 v7, vcc, v0, v7
	v_lshlrev_b64 v[9:10], 1, v[9:10]
	v_addc_co_u32_e32 v8, vcc, v1, v8, vcc
	v_add_co_u32_e32 v9, vcc, v2, v9
	v_addc_co_u32_e32 v10, vcc, v3, v10, vcc
	global_load_ushort v5, v[9:10], off
	global_load_ushort v11, v[7:8], off
	s_waitcnt vmcnt(0)
	v_fma_f16 v5, v6, v11, v5
	global_store_short v[9:10], v5, off
.LBB2_10:
	s_or_b64 exec, exec, s[2:3]
	v_or_b32_e32 v4, 3, v4
	v_cmp_gt_u32_e32 vcc, s6, v4
	s_and_b64 exec, exec, vcc
	s_cbranch_execz .LBB2_13
; %bb.11:
	v_mad_u64_u32 v[5:6], s[2:3], s10, v4, 0
	v_mad_u64_u32 v[6:7], s[2:3], s11, v4, v[6:7]
	v_mov_b32_e32 v7, s9
	v_lshlrev_b64 v[5:6], 1, v[5:6]
	v_add_co_u32_e32 v5, vcc, s8, v5
	v_addc_co_u32_e32 v6, vcc, v7, v6, vcc
	global_load_ushort v5, v[5:6], off
	s_waitcnt vmcnt(0)
	v_cmp_neq_f16_e32 vcc, 0, v5
	s_and_b64 exec, exec, vcc
	s_cbranch_execz .LBB2_13
; %bb.12:
	v_mad_u64_u32 v[6:7], s[2:3], s0, v4, 0
	v_mad_u64_u32 v[8:9], s[2:3], s16, v4, 0
	;; [unrolled: 1-line block ×3, first 2 shown]
	v_mov_b32_e32 v7, v10
	v_mad_u64_u32 v[9:10], s[0:1], s17, v4, v[9:10]
	v_lshlrev_b64 v[6:7], 1, v[6:7]
	v_add_co_u32_e32 v0, vcc, v0, v6
	v_addc_co_u32_e32 v1, vcc, v1, v7, vcc
	v_lshlrev_b64 v[6:7], 1, v[8:9]
	v_add_co_u32_e32 v2, vcc, v2, v6
	v_addc_co_u32_e32 v3, vcc, v3, v7, vcc
	global_load_ushort v4, v[2:3], off
	global_load_ushort v6, v[0:1], off
	s_waitcnt vmcnt(0)
	v_fma_f16 v0, v5, v6, v4
	global_store_short v[2:3], v0, off
.LBB2_13:
	s_endpgm
	.section	.rodata,"a",@progbits
	.p2align	6, 0x0
	.amdhsa_kernel _ZL27rocblas_axpy_kernel_batchedIiLi128ELi8EDF16_PKDF16_S1_PDF16_EviT3_lT4_lT_lT5_lS5_li
		.amdhsa_group_segment_fixed_size 0
		.amdhsa_private_segment_fixed_size 0
		.amdhsa_kernarg_size 92
		.amdhsa_user_sgpr_count 6
		.amdhsa_user_sgpr_private_segment_buffer 1
		.amdhsa_user_sgpr_dispatch_ptr 0
		.amdhsa_user_sgpr_queue_ptr 0
		.amdhsa_user_sgpr_kernarg_segment_ptr 1
		.amdhsa_user_sgpr_dispatch_id 0
		.amdhsa_user_sgpr_flat_scratch_init 0
		.amdhsa_user_sgpr_private_segment_size 0
		.amdhsa_uses_dynamic_stack 0
		.amdhsa_system_sgpr_private_segment_wavefront_offset 0
		.amdhsa_system_sgpr_workgroup_id_x 1
		.amdhsa_system_sgpr_workgroup_id_y 0
		.amdhsa_system_sgpr_workgroup_id_z 1
		.amdhsa_system_sgpr_workgroup_info 0
		.amdhsa_system_vgpr_workitem_id 1
		.amdhsa_next_free_vgpr 13
		.amdhsa_next_free_sgpr 23
		.amdhsa_reserve_vcc 1
		.amdhsa_reserve_flat_scratch 0
		.amdhsa_float_round_mode_32 0
		.amdhsa_float_round_mode_16_64 0
		.amdhsa_float_denorm_mode_32 3
		.amdhsa_float_denorm_mode_16_64 3
		.amdhsa_dx10_clamp 1
		.amdhsa_ieee_mode 1
		.amdhsa_fp16_overflow 0
		.amdhsa_exception_fp_ieee_invalid_op 0
		.amdhsa_exception_fp_denorm_src 0
		.amdhsa_exception_fp_ieee_div_zero 0
		.amdhsa_exception_fp_ieee_overflow 0
		.amdhsa_exception_fp_ieee_underflow 0
		.amdhsa_exception_fp_ieee_inexact 0
		.amdhsa_exception_int_div_zero 0
	.end_amdhsa_kernel
	.section	.text._ZL27rocblas_axpy_kernel_batchedIiLi128ELi8EDF16_PKDF16_S1_PDF16_EviT3_lT4_lT_lT5_lS5_li,"axG",@progbits,_ZL27rocblas_axpy_kernel_batchedIiLi128ELi8EDF16_PKDF16_S1_PDF16_EviT3_lT4_lT_lT5_lS5_li,comdat
.Lfunc_end2:
	.size	_ZL27rocblas_axpy_kernel_batchedIiLi128ELi8EDF16_PKDF16_S1_PDF16_EviT3_lT4_lT_lT5_lS5_li, .Lfunc_end2-_ZL27rocblas_axpy_kernel_batchedIiLi128ELi8EDF16_PKDF16_S1_PDF16_EviT3_lT4_lT_lT5_lS5_li
                                        ; -- End function
	.set _ZL27rocblas_axpy_kernel_batchedIiLi128ELi8EDF16_PKDF16_S1_PDF16_EviT3_lT4_lT_lT5_lS5_li.num_vgpr, 13
	.set _ZL27rocblas_axpy_kernel_batchedIiLi128ELi8EDF16_PKDF16_S1_PDF16_EviT3_lT4_lT_lT5_lS5_li.num_agpr, 0
	.set _ZL27rocblas_axpy_kernel_batchedIiLi128ELi8EDF16_PKDF16_S1_PDF16_EviT3_lT4_lT_lT5_lS5_li.numbered_sgpr, 23
	.set _ZL27rocblas_axpy_kernel_batchedIiLi128ELi8EDF16_PKDF16_S1_PDF16_EviT3_lT4_lT_lT5_lS5_li.num_named_barrier, 0
	.set _ZL27rocblas_axpy_kernel_batchedIiLi128ELi8EDF16_PKDF16_S1_PDF16_EviT3_lT4_lT_lT5_lS5_li.private_seg_size, 0
	.set _ZL27rocblas_axpy_kernel_batchedIiLi128ELi8EDF16_PKDF16_S1_PDF16_EviT3_lT4_lT_lT5_lS5_li.uses_vcc, 1
	.set _ZL27rocblas_axpy_kernel_batchedIiLi128ELi8EDF16_PKDF16_S1_PDF16_EviT3_lT4_lT_lT5_lS5_li.uses_flat_scratch, 0
	.set _ZL27rocblas_axpy_kernel_batchedIiLi128ELi8EDF16_PKDF16_S1_PDF16_EviT3_lT4_lT_lT5_lS5_li.has_dyn_sized_stack, 0
	.set _ZL27rocblas_axpy_kernel_batchedIiLi128ELi8EDF16_PKDF16_S1_PDF16_EviT3_lT4_lT_lT5_lS5_li.has_recursion, 0
	.set _ZL27rocblas_axpy_kernel_batchedIiLi128ELi8EDF16_PKDF16_S1_PDF16_EviT3_lT4_lT_lT5_lS5_li.has_indirect_call, 0
	.section	.AMDGPU.csdata,"",@progbits
; Kernel info:
; codeLenInByte = 960
; TotalNumSgprs: 27
; NumVgprs: 13
; ScratchSize: 0
; MemoryBound: 0
; FloatMode: 240
; IeeeMode: 1
; LDSByteSize: 0 bytes/workgroup (compile time only)
; SGPRBlocks: 3
; VGPRBlocks: 3
; NumSGPRsForWavesPerEU: 27
; NumVGPRsForWavesPerEU: 13
; Occupancy: 10
; WaveLimiterHint : 0
; COMPUTE_PGM_RSRC2:SCRATCH_EN: 0
; COMPUTE_PGM_RSRC2:USER_SGPR: 6
; COMPUTE_PGM_RSRC2:TRAP_HANDLER: 0
; COMPUTE_PGM_RSRC2:TGID_X_EN: 1
; COMPUTE_PGM_RSRC2:TGID_Y_EN: 0
; COMPUTE_PGM_RSRC2:TGID_Z_EN: 1
; COMPUTE_PGM_RSRC2:TIDIG_COMP_CNT: 1
	.section	.text._ZL27rocblas_axpy_kernel_batchedIiLi128ELi8EDF16_DF16_PKDF16_PDF16_EviT3_lT4_lT_lT5_lS5_li,"axG",@progbits,_ZL27rocblas_axpy_kernel_batchedIiLi128ELi8EDF16_DF16_PKDF16_PDF16_EviT3_lT4_lT_lT5_lS5_li,comdat
	.globl	_ZL27rocblas_axpy_kernel_batchedIiLi128ELi8EDF16_DF16_PKDF16_PDF16_EviT3_lT4_lT_lT5_lS5_li ; -- Begin function _ZL27rocblas_axpy_kernel_batchedIiLi128ELi8EDF16_DF16_PKDF16_PDF16_EviT3_lT4_lT_lT5_lS5_li
	.p2align	8
	.type	_ZL27rocblas_axpy_kernel_batchedIiLi128ELi8EDF16_DF16_PKDF16_PDF16_EviT3_lT4_lT_lT5_lS5_li,@function
_ZL27rocblas_axpy_kernel_batchedIiLi128ELi8EDF16_DF16_PKDF16_PDF16_EviT3_lT4_lT_lT5_lS5_li: ; @_ZL27rocblas_axpy_kernel_batchedIiLi128ELi8EDF16_DF16_PKDF16_PDF16_EviT3_lT4_lT_lT5_lS5_li
; %bb.0:
	s_load_dwordx2 s[8:9], s[4:5], 0x0
	v_lshl_add_u32 v2, s6, 7, v0
	v_mov_b32_e32 v3, 0
	s_waitcnt lgkmcnt(0)
	s_ashr_i32 s1, s8, 31
	s_mov_b32 s0, s8
	v_cmp_gt_i64_e32 vcc, s[0:1], v[2:3]
	s_and_saveexec_b64 s[0:1], vcc
	s_cbranch_execz .LBB3_9
; %bb.1:
	s_load_dword s8, s[4:5], 0x20
	s_load_dwordx4 s[12:15], s[4:5], 0x10
	s_load_dwordx4 s[0:3], s[4:5], 0x28
	s_load_dwordx2 s[16:17], s[4:5], 0x38
	s_load_dword s19, s[4:5], 0x40
	s_load_dwordx2 s[10:11], s[4:5], 0x48
	s_load_dword s6, s[4:5], 0x50
	s_waitcnt lgkmcnt(0)
	v_mad_u64_u32 v[5:6], s[4:5], s8, v2, 0
	s_ashr_i32 s18, s8, 31
	v_mad_u64_u32 v[7:8], s[4:5], s19, v2, 0
	v_mov_b32_e32 v0, v6
	v_mad_u64_u32 v[3:4], s[4:5], s18, v2, v[0:1]
	s_ashr_i32 s8, s19, 31
	v_mov_b32_e32 v0, v8
	v_mad_u64_u32 v[8:9], s[4:5], s8, v2, v[0:1]
	v_lshlrev_b32_e32 v0, 2, v1
	v_mov_b32_e32 v6, v3
	s_lshl_b64 s[14:15], s[14:15], 1
	v_lshl_add_u32 v4, s7, 5, v0
	s_add_u32 s7, s12, s14
	v_lshlrev_b64 v[0:1], 1, v[5:6]
	s_addc_u32 s8, s13, s15
	v_mov_b32_e32 v2, s8
	v_add_co_u32_e32 v0, vcc, s7, v0
	s_lshl_b64 s[12:13], s[16:17], 1
	v_addc_co_u32_e32 v1, vcc, v2, v1, vcc
	s_add_u32 s2, s2, s12
	v_lshlrev_b64 v[2:3], 1, v[7:8]
	s_addc_u32 s3, s3, s13
	v_mov_b32_e32 v5, s3
	v_add_co_u32_e32 v2, vcc, s2, v2
	v_addc_co_u32_e32 v3, vcc, v5, v3, vcc
	v_cmp_neq_f16_e64 s[4:5], s9, 0
	v_cmp_gt_u32_e32 vcc, s6, v4
	s_and_b64 s[12:13], s[4:5], vcc
	s_and_saveexec_b64 s[2:3], s[12:13]
	s_cbranch_execz .LBB3_3
; %bb.2:
	v_mad_u64_u32 v[5:6], s[12:13], s0, v4, 0
	v_mad_u64_u32 v[7:8], s[12:13], s10, v4, 0
	;; [unrolled: 1-line block ×3, first 2 shown]
	v_mov_b32_e32 v6, v9
	v_mad_u64_u32 v[8:9], s[12:13], s11, v4, v[8:9]
	v_lshlrev_b64 v[5:6], 1, v[5:6]
	v_add_co_u32_e32 v5, vcc, v0, v5
	v_lshlrev_b64 v[7:8], 1, v[7:8]
	v_addc_co_u32_e32 v6, vcc, v1, v6, vcc
	v_add_co_u32_e32 v7, vcc, v2, v7
	v_addc_co_u32_e32 v8, vcc, v3, v8, vcc
	global_load_ushort v9, v[7:8], off
	global_load_ushort v10, v[5:6], off
	s_waitcnt vmcnt(0)
	v_fma_f16 v5, s9, v10, v9
	global_store_short v[7:8], v5, off
.LBB3_3:
	s_or_b64 exec, exec, s[2:3]
	v_or_b32_e32 v5, 1, v4
	v_cmp_gt_u32_e32 vcc, s6, v5
	s_and_b64 s[12:13], s[4:5], vcc
	s_and_saveexec_b64 s[2:3], s[12:13]
	s_cbranch_execz .LBB3_5
; %bb.4:
	v_mad_u64_u32 v[6:7], s[12:13], s0, v5, 0
	v_mad_u64_u32 v[8:9], s[12:13], s10, v5, 0
	;; [unrolled: 1-line block ×3, first 2 shown]
	v_mov_b32_e32 v7, v10
	v_mad_u64_u32 v[9:10], s[12:13], s11, v5, v[9:10]
	v_lshlrev_b64 v[6:7], 1, v[6:7]
	v_add_co_u32_e32 v5, vcc, v0, v6
	v_addc_co_u32_e32 v6, vcc, v1, v7, vcc
	v_lshlrev_b64 v[7:8], 1, v[8:9]
	v_add_co_u32_e32 v7, vcc, v2, v7
	v_addc_co_u32_e32 v8, vcc, v3, v8, vcc
	global_load_ushort v9, v[7:8], off
	global_load_ushort v10, v[5:6], off
	s_waitcnt vmcnt(0)
	v_fma_f16 v5, s9, v10, v9
	global_store_short v[7:8], v5, off
.LBB3_5:
	s_or_b64 exec, exec, s[2:3]
	v_or_b32_e32 v5, 2, v4
	v_cmp_gt_u32_e32 vcc, s6, v5
	s_and_b64 s[12:13], s[4:5], vcc
	s_and_saveexec_b64 s[2:3], s[12:13]
	s_cbranch_execz .LBB3_7
; %bb.6:
	v_mad_u64_u32 v[6:7], s[12:13], s0, v5, 0
	v_mad_u64_u32 v[8:9], s[12:13], s10, v5, 0
	;; [unrolled: 1-line block ×3, first 2 shown]
	v_mov_b32_e32 v7, v10
	v_mad_u64_u32 v[9:10], s[12:13], s11, v5, v[9:10]
	v_lshlrev_b64 v[6:7], 1, v[6:7]
	v_add_co_u32_e32 v5, vcc, v0, v6
	v_addc_co_u32_e32 v6, vcc, v1, v7, vcc
	v_lshlrev_b64 v[7:8], 1, v[8:9]
	v_add_co_u32_e32 v7, vcc, v2, v7
	v_addc_co_u32_e32 v8, vcc, v3, v8, vcc
	global_load_ushort v9, v[7:8], off
	global_load_ushort v10, v[5:6], off
	s_waitcnt vmcnt(0)
	v_fma_f16 v5, s9, v10, v9
	global_store_short v[7:8], v5, off
.LBB3_7:
	s_or_b64 exec, exec, s[2:3]
	v_or_b32_e32 v4, 3, v4
	v_cmp_gt_u32_e32 vcc, s6, v4
	s_and_b64 s[2:3], s[4:5], vcc
	s_and_b64 exec, exec, s[2:3]
	s_cbranch_execz .LBB3_9
; %bb.8:
	v_mad_u64_u32 v[5:6], s[2:3], s0, v4, 0
	v_mad_u64_u32 v[7:8], s[2:3], s10, v4, 0
	;; [unrolled: 1-line block ×3, first 2 shown]
	v_mov_b32_e32 v6, v9
	v_mad_u64_u32 v[8:9], s[0:1], s11, v4, v[8:9]
	v_lshlrev_b64 v[5:6], 1, v[5:6]
	v_add_co_u32_e32 v0, vcc, v0, v5
	v_lshlrev_b64 v[4:5], 1, v[7:8]
	v_addc_co_u32_e32 v1, vcc, v1, v6, vcc
	v_add_co_u32_e32 v2, vcc, v2, v4
	v_addc_co_u32_e32 v3, vcc, v3, v5, vcc
	global_load_ushort v4, v[2:3], off
	global_load_ushort v5, v[0:1], off
	s_waitcnt vmcnt(0)
	v_fma_f16 v0, s9, v5, v4
	global_store_short v[2:3], v0, off
.LBB3_9:
	s_endpgm
	.section	.rodata,"a",@progbits
	.p2align	6, 0x0
	.amdhsa_kernel _ZL27rocblas_axpy_kernel_batchedIiLi128ELi8EDF16_DF16_PKDF16_PDF16_EviT3_lT4_lT_lT5_lS5_li
		.amdhsa_group_segment_fixed_size 0
		.amdhsa_private_segment_fixed_size 0
		.amdhsa_kernarg_size 84
		.amdhsa_user_sgpr_count 6
		.amdhsa_user_sgpr_private_segment_buffer 1
		.amdhsa_user_sgpr_dispatch_ptr 0
		.amdhsa_user_sgpr_queue_ptr 0
		.amdhsa_user_sgpr_kernarg_segment_ptr 1
		.amdhsa_user_sgpr_dispatch_id 0
		.amdhsa_user_sgpr_flat_scratch_init 0
		.amdhsa_user_sgpr_private_segment_size 0
		.amdhsa_uses_dynamic_stack 0
		.amdhsa_system_sgpr_private_segment_wavefront_offset 0
		.amdhsa_system_sgpr_workgroup_id_x 1
		.amdhsa_system_sgpr_workgroup_id_y 0
		.amdhsa_system_sgpr_workgroup_id_z 1
		.amdhsa_system_sgpr_workgroup_info 0
		.amdhsa_system_vgpr_workitem_id 1
		.amdhsa_next_free_vgpr 12
		.amdhsa_next_free_sgpr 20
		.amdhsa_reserve_vcc 1
		.amdhsa_reserve_flat_scratch 0
		.amdhsa_float_round_mode_32 0
		.amdhsa_float_round_mode_16_64 0
		.amdhsa_float_denorm_mode_32 3
		.amdhsa_float_denorm_mode_16_64 3
		.amdhsa_dx10_clamp 1
		.amdhsa_ieee_mode 1
		.amdhsa_fp16_overflow 0
		.amdhsa_exception_fp_ieee_invalid_op 0
		.amdhsa_exception_fp_denorm_src 0
		.amdhsa_exception_fp_ieee_div_zero 0
		.amdhsa_exception_fp_ieee_overflow 0
		.amdhsa_exception_fp_ieee_underflow 0
		.amdhsa_exception_fp_ieee_inexact 0
		.amdhsa_exception_int_div_zero 0
	.end_amdhsa_kernel
	.section	.text._ZL27rocblas_axpy_kernel_batchedIiLi128ELi8EDF16_DF16_PKDF16_PDF16_EviT3_lT4_lT_lT5_lS5_li,"axG",@progbits,_ZL27rocblas_axpy_kernel_batchedIiLi128ELi8EDF16_DF16_PKDF16_PDF16_EviT3_lT4_lT_lT5_lS5_li,comdat
.Lfunc_end3:
	.size	_ZL27rocblas_axpy_kernel_batchedIiLi128ELi8EDF16_DF16_PKDF16_PDF16_EviT3_lT4_lT_lT5_lS5_li, .Lfunc_end3-_ZL27rocblas_axpy_kernel_batchedIiLi128ELi8EDF16_DF16_PKDF16_PDF16_EviT3_lT4_lT_lT5_lS5_li
                                        ; -- End function
	.set _ZL27rocblas_axpy_kernel_batchedIiLi128ELi8EDF16_DF16_PKDF16_PDF16_EviT3_lT4_lT_lT5_lS5_li.num_vgpr, 12
	.set _ZL27rocblas_axpy_kernel_batchedIiLi128ELi8EDF16_DF16_PKDF16_PDF16_EviT3_lT4_lT_lT5_lS5_li.num_agpr, 0
	.set _ZL27rocblas_axpy_kernel_batchedIiLi128ELi8EDF16_DF16_PKDF16_PDF16_EviT3_lT4_lT_lT5_lS5_li.numbered_sgpr, 20
	.set _ZL27rocblas_axpy_kernel_batchedIiLi128ELi8EDF16_DF16_PKDF16_PDF16_EviT3_lT4_lT_lT5_lS5_li.num_named_barrier, 0
	.set _ZL27rocblas_axpy_kernel_batchedIiLi128ELi8EDF16_DF16_PKDF16_PDF16_EviT3_lT4_lT_lT5_lS5_li.private_seg_size, 0
	.set _ZL27rocblas_axpy_kernel_batchedIiLi128ELi8EDF16_DF16_PKDF16_PDF16_EviT3_lT4_lT_lT5_lS5_li.uses_vcc, 1
	.set _ZL27rocblas_axpy_kernel_batchedIiLi128ELi8EDF16_DF16_PKDF16_PDF16_EviT3_lT4_lT_lT5_lS5_li.uses_flat_scratch, 0
	.set _ZL27rocblas_axpy_kernel_batchedIiLi128ELi8EDF16_DF16_PKDF16_PDF16_EviT3_lT4_lT_lT5_lS5_li.has_dyn_sized_stack, 0
	.set _ZL27rocblas_axpy_kernel_batchedIiLi128ELi8EDF16_DF16_PKDF16_PDF16_EviT3_lT4_lT_lT5_lS5_li.has_recursion, 0
	.set _ZL27rocblas_axpy_kernel_batchedIiLi128ELi8EDF16_DF16_PKDF16_PDF16_EviT3_lT4_lT_lT5_lS5_li.has_indirect_call, 0
	.section	.AMDGPU.csdata,"",@progbits
; Kernel info:
; codeLenInByte = 748
; TotalNumSgprs: 24
; NumVgprs: 12
; ScratchSize: 0
; MemoryBound: 0
; FloatMode: 240
; IeeeMode: 1
; LDSByteSize: 0 bytes/workgroup (compile time only)
; SGPRBlocks: 2
; VGPRBlocks: 2
; NumSGPRsForWavesPerEU: 24
; NumVGPRsForWavesPerEU: 12
; Occupancy: 10
; WaveLimiterHint : 0
; COMPUTE_PGM_RSRC2:SCRATCH_EN: 0
; COMPUTE_PGM_RSRC2:USER_SGPR: 6
; COMPUTE_PGM_RSRC2:TRAP_HANDLER: 0
; COMPUTE_PGM_RSRC2:TGID_X_EN: 1
; COMPUTE_PGM_RSRC2:TGID_Y_EN: 0
; COMPUTE_PGM_RSRC2:TGID_Z_EN: 1
; COMPUTE_PGM_RSRC2:TIDIG_COMP_CNT: 1
	.section	.text._ZL19rocblas_axpy_kernelIiLi256EDF16_PKDF16_S1_PDF16_EviT2_lT3_lT_lT4_lS5_li,"axG",@progbits,_ZL19rocblas_axpy_kernelIiLi256EDF16_PKDF16_S1_PDF16_EviT2_lT3_lT_lT4_lS5_li,comdat
	.globl	_ZL19rocblas_axpy_kernelIiLi256EDF16_PKDF16_S1_PDF16_EviT2_lT3_lT_lT4_lS5_li ; -- Begin function _ZL19rocblas_axpy_kernelIiLi256EDF16_PKDF16_S1_PDF16_EviT2_lT3_lT_lT4_lS5_li
	.p2align	8
	.type	_ZL19rocblas_axpy_kernelIiLi256EDF16_PKDF16_S1_PDF16_EviT2_lT3_lT_lT4_lS5_li,@function
_ZL19rocblas_axpy_kernelIiLi256EDF16_PKDF16_S1_PDF16_EviT2_lT3_lT_lT4_lS5_li: ; @_ZL19rocblas_axpy_kernelIiLi256EDF16_PKDF16_S1_PDF16_EviT2_lT3_lT_lT4_lS5_li
; %bb.0:
	s_load_dword s8, s[4:5], 0x0
	s_load_dwordx4 s[0:3], s[4:5], 0x8
	v_mov_b32_e32 v1, 0
	v_lshl_or_b32 v0, s6, 8, v0
	s_waitcnt lgkmcnt(0)
	s_ashr_i32 s9, s8, 31
	s_mul_i32 s3, s3, s7
	s_mul_hi_u32 s10, s2, s7
	s_add_i32 s3, s10, s3
	s_mul_i32 s2, s2, s7
	s_lshl_b64 s[2:3], s[2:3], 1
	s_add_u32 s0, s0, s2
	s_addc_u32 s1, s1, s3
	global_load_ushort v2, v1, s[0:1]
	v_cmp_gt_i64_e32 vcc, s[8:9], v[0:1]
	s_waitcnt vmcnt(0)
	v_cmp_neq_f16_e64 s[0:1], 0, v2
	s_and_b64 s[0:1], vcc, s[0:1]
	s_and_saveexec_b64 s[2:3], s[0:1]
	s_cbranch_execz .LBB4_2
; %bb.1:
	s_load_dword s6, s[4:5], 0x28
	s_load_dwordx4 s[8:11], s[4:5], 0x18
	s_waitcnt lgkmcnt(0)
	v_mad_u64_u32 v[3:4], s[0:1], s6, v0, 0
	s_load_dwordx4 s[0:3], s[4:5], 0x30
	s_load_dwordx2 s[12:13], s[4:5], 0x40
	s_load_dword s16, s[4:5], 0x48
	s_ashr_i32 s6, s6, 31
	v_mov_b32_e32 v1, v4
	v_mad_u64_u32 v[4:5], s[14:15], s6, v0, v[1:2]
	s_waitcnt lgkmcnt(0)
	s_mul_i32 s1, s1, s7
	s_mul_hi_u32 s14, s0, s7
	s_add_i32 s1, s14, s1
	s_mul_i32 s0, s0, s7
	s_ashr_i32 s6, s16, 31
	s_lshl_b64 s[0:1], s[0:1], 1
	s_add_u32 s8, s8, s0
	s_addc_u32 s14, s9, s1
	s_lshl_b64 s[0:1], s[10:11], 1
	s_add_u32 s10, s8, s0
	v_mad_u64_u32 v[5:6], s[8:9], s16, v0, 0
	s_load_dwordx2 s[4:5], s[4:5], 0x50
	s_addc_u32 s0, s14, s1
	v_mov_b32_e32 v1, v6
	v_mov_b32_e32 v7, s0
	v_mad_u64_u32 v[0:1], s[0:1], s6, v0, v[1:2]
	s_waitcnt lgkmcnt(0)
	s_mul_i32 s0, s5, s7
	s_mul_hi_u32 s1, s4, s7
	s_add_i32 s1, s1, s0
	s_mul_i32 s0, s4, s7
	s_lshl_b64 s[0:1], s[0:1], 1
	v_lshlrev_b64 v[3:4], 1, v[3:4]
	s_add_u32 s2, s2, s0
	v_mov_b32_e32 v6, v0
	s_addc_u32 s3, s3, s1
	s_lshl_b64 s[0:1], s[12:13], 1
	v_add_co_u32_e32 v3, vcc, s10, v3
	s_add_u32 s0, s2, s0
	v_lshlrev_b64 v[0:1], 1, v[5:6]
	v_addc_co_u32_e32 v4, vcc, v7, v4, vcc
	s_addc_u32 s1, s3, s1
	v_mov_b32_e32 v5, s1
	v_add_co_u32_e32 v0, vcc, s0, v0
	v_addc_co_u32_e32 v1, vcc, v5, v1, vcc
	global_load_ushort v5, v[0:1], off
	global_load_ushort v6, v[3:4], off
	s_waitcnt vmcnt(0)
	v_fma_f16 v2, v2, v6, v5
	global_store_short v[0:1], v2, off
.LBB4_2:
	s_endpgm
	.section	.rodata,"a",@progbits
	.p2align	6, 0x0
	.amdhsa_kernel _ZL19rocblas_axpy_kernelIiLi256EDF16_PKDF16_S1_PDF16_EviT2_lT3_lT_lT4_lS5_li
		.amdhsa_group_segment_fixed_size 0
		.amdhsa_private_segment_fixed_size 0
		.amdhsa_kernarg_size 92
		.amdhsa_user_sgpr_count 6
		.amdhsa_user_sgpr_private_segment_buffer 1
		.amdhsa_user_sgpr_dispatch_ptr 0
		.amdhsa_user_sgpr_queue_ptr 0
		.amdhsa_user_sgpr_kernarg_segment_ptr 1
		.amdhsa_user_sgpr_dispatch_id 0
		.amdhsa_user_sgpr_flat_scratch_init 0
		.amdhsa_user_sgpr_private_segment_size 0
		.amdhsa_uses_dynamic_stack 0
		.amdhsa_system_sgpr_private_segment_wavefront_offset 0
		.amdhsa_system_sgpr_workgroup_id_x 1
		.amdhsa_system_sgpr_workgroup_id_y 0
		.amdhsa_system_sgpr_workgroup_id_z 1
		.amdhsa_system_sgpr_workgroup_info 0
		.amdhsa_system_vgpr_workitem_id 0
		.amdhsa_next_free_vgpr 8
		.amdhsa_next_free_sgpr 17
		.amdhsa_reserve_vcc 1
		.amdhsa_reserve_flat_scratch 0
		.amdhsa_float_round_mode_32 0
		.amdhsa_float_round_mode_16_64 0
		.amdhsa_float_denorm_mode_32 3
		.amdhsa_float_denorm_mode_16_64 3
		.amdhsa_dx10_clamp 1
		.amdhsa_ieee_mode 1
		.amdhsa_fp16_overflow 0
		.amdhsa_exception_fp_ieee_invalid_op 0
		.amdhsa_exception_fp_denorm_src 0
		.amdhsa_exception_fp_ieee_div_zero 0
		.amdhsa_exception_fp_ieee_overflow 0
		.amdhsa_exception_fp_ieee_underflow 0
		.amdhsa_exception_fp_ieee_inexact 0
		.amdhsa_exception_int_div_zero 0
	.end_amdhsa_kernel
	.section	.text._ZL19rocblas_axpy_kernelIiLi256EDF16_PKDF16_S1_PDF16_EviT2_lT3_lT_lT4_lS5_li,"axG",@progbits,_ZL19rocblas_axpy_kernelIiLi256EDF16_PKDF16_S1_PDF16_EviT2_lT3_lT_lT4_lS5_li,comdat
.Lfunc_end4:
	.size	_ZL19rocblas_axpy_kernelIiLi256EDF16_PKDF16_S1_PDF16_EviT2_lT3_lT_lT4_lS5_li, .Lfunc_end4-_ZL19rocblas_axpy_kernelIiLi256EDF16_PKDF16_S1_PDF16_EviT2_lT3_lT_lT4_lS5_li
                                        ; -- End function
	.set _ZL19rocblas_axpy_kernelIiLi256EDF16_PKDF16_S1_PDF16_EviT2_lT3_lT_lT4_lS5_li.num_vgpr, 8
	.set _ZL19rocblas_axpy_kernelIiLi256EDF16_PKDF16_S1_PDF16_EviT2_lT3_lT_lT4_lS5_li.num_agpr, 0
	.set _ZL19rocblas_axpy_kernelIiLi256EDF16_PKDF16_S1_PDF16_EviT2_lT3_lT_lT4_lS5_li.numbered_sgpr, 17
	.set _ZL19rocblas_axpy_kernelIiLi256EDF16_PKDF16_S1_PDF16_EviT2_lT3_lT_lT4_lS5_li.num_named_barrier, 0
	.set _ZL19rocblas_axpy_kernelIiLi256EDF16_PKDF16_S1_PDF16_EviT2_lT3_lT_lT4_lS5_li.private_seg_size, 0
	.set _ZL19rocblas_axpy_kernelIiLi256EDF16_PKDF16_S1_PDF16_EviT2_lT3_lT_lT4_lS5_li.uses_vcc, 1
	.set _ZL19rocblas_axpy_kernelIiLi256EDF16_PKDF16_S1_PDF16_EviT2_lT3_lT_lT4_lS5_li.uses_flat_scratch, 0
	.set _ZL19rocblas_axpy_kernelIiLi256EDF16_PKDF16_S1_PDF16_EviT2_lT3_lT_lT4_lS5_li.has_dyn_sized_stack, 0
	.set _ZL19rocblas_axpy_kernelIiLi256EDF16_PKDF16_S1_PDF16_EviT2_lT3_lT_lT4_lS5_li.has_recursion, 0
	.set _ZL19rocblas_axpy_kernelIiLi256EDF16_PKDF16_S1_PDF16_EviT2_lT3_lT_lT4_lS5_li.has_indirect_call, 0
	.section	.AMDGPU.csdata,"",@progbits
; Kernel info:
; codeLenInByte = 372
; TotalNumSgprs: 21
; NumVgprs: 8
; ScratchSize: 0
; MemoryBound: 0
; FloatMode: 240
; IeeeMode: 1
; LDSByteSize: 0 bytes/workgroup (compile time only)
; SGPRBlocks: 2
; VGPRBlocks: 1
; NumSGPRsForWavesPerEU: 21
; NumVGPRsForWavesPerEU: 8
; Occupancy: 10
; WaveLimiterHint : 0
; COMPUTE_PGM_RSRC2:SCRATCH_EN: 0
; COMPUTE_PGM_RSRC2:USER_SGPR: 6
; COMPUTE_PGM_RSRC2:TRAP_HANDLER: 0
; COMPUTE_PGM_RSRC2:TGID_X_EN: 1
; COMPUTE_PGM_RSRC2:TGID_Y_EN: 0
; COMPUTE_PGM_RSRC2:TGID_Z_EN: 1
; COMPUTE_PGM_RSRC2:TIDIG_COMP_CNT: 0
	.section	.text._ZL19rocblas_axpy_kernelIiLi256EDF16_DF16_PKDF16_PDF16_EviT2_lT3_lT_lT4_lS5_li,"axG",@progbits,_ZL19rocblas_axpy_kernelIiLi256EDF16_DF16_PKDF16_PDF16_EviT2_lT3_lT_lT4_lS5_li,comdat
	.globl	_ZL19rocblas_axpy_kernelIiLi256EDF16_DF16_PKDF16_PDF16_EviT2_lT3_lT_lT4_lS5_li ; -- Begin function _ZL19rocblas_axpy_kernelIiLi256EDF16_DF16_PKDF16_PDF16_EviT2_lT3_lT_lT4_lS5_li
	.p2align	8
	.type	_ZL19rocblas_axpy_kernelIiLi256EDF16_DF16_PKDF16_PDF16_EviT2_lT3_lT_lT4_lS5_li,@function
_ZL19rocblas_axpy_kernelIiLi256EDF16_DF16_PKDF16_PDF16_EviT2_lT3_lT_lT4_lS5_li: ; @_ZL19rocblas_axpy_kernelIiLi256EDF16_DF16_PKDF16_PDF16_EviT2_lT3_lT_lT4_lS5_li
; %bb.0:
	s_load_dwordx2 s[8:9], s[4:5], 0x0
	v_lshl_or_b32 v0, s6, 8, v0
	v_mov_b32_e32 v1, 0
	s_waitcnt lgkmcnt(0)
	s_ashr_i32 s1, s8, 31
	s_mov_b32 s0, s8
	v_cmp_gt_i64_e32 vcc, s[0:1], v[0:1]
	v_cmp_neq_f16_e64 s[0:1], s9, 0
	s_and_b64 s[0:1], s[0:1], vcc
	s_and_saveexec_b64 s[2:3], s[0:1]
	s_cbranch_execz .LBB5_2
; %bb.1:
	s_load_dword s6, s[4:5], 0x20
	s_load_dwordx4 s[12:15], s[4:5], 0x10
	s_waitcnt lgkmcnt(0)
	v_mad_u64_u32 v[1:2], s[0:1], s6, v0, 0
	s_load_dwordx4 s[0:3], s[4:5], 0x28
	s_load_dwordx2 s[10:11], s[4:5], 0x38
	s_load_dword s8, s[4:5], 0x40
	s_ashr_i32 s6, s6, 31
	v_mad_u64_u32 v[2:3], s[16:17], s6, v0, v[2:3]
	s_waitcnt lgkmcnt(0)
	s_mul_i32 s1, s1, s7
	s_mul_hi_u32 s16, s0, s7
	s_add_i32 s1, s16, s1
	s_mul_i32 s0, s0, s7
	s_ashr_i32 s6, s8, 31
	s_lshl_b64 s[0:1], s[0:1], 1
	s_add_u32 s12, s12, s0
	s_addc_u32 s16, s13, s1
	s_lshl_b64 s[0:1], s[14:15], 1
	s_load_dwordx2 s[4:5], s[4:5], 0x48
	s_add_u32 s14, s12, s0
	v_mad_u64_u32 v[3:4], s[12:13], s8, v0, 0
	s_addc_u32 s0, s16, s1
	v_mov_b32_e32 v6, s0
	v_mad_u64_u32 v[4:5], s[0:1], s6, v0, v[4:5]
	s_waitcnt lgkmcnt(0)
	s_mul_i32 s0, s5, s7
	s_mul_hi_u32 s1, s4, s7
	s_add_i32 s1, s1, s0
	s_mul_i32 s0, s4, s7
	v_lshlrev_b64 v[1:2], 1, v[1:2]
	s_lshl_b64 s[0:1], s[0:1], 1
	s_add_u32 s2, s2, s0
	v_add_co_u32_e32 v0, vcc, s14, v1
	s_addc_u32 s3, s3, s1
	s_lshl_b64 s[0:1], s[10:11], 1
	v_addc_co_u32_e32 v1, vcc, v6, v2, vcc
	s_add_u32 s0, s2, s0
	v_lshlrev_b64 v[2:3], 1, v[3:4]
	s_addc_u32 s1, s3, s1
	v_mov_b32_e32 v4, s1
	v_add_co_u32_e32 v2, vcc, s0, v2
	v_addc_co_u32_e32 v3, vcc, v4, v3, vcc
	global_load_ushort v4, v[2:3], off
	global_load_ushort v5, v[0:1], off
	s_waitcnt vmcnt(0)
	v_fma_f16 v0, s9, v5, v4
	global_store_short v[2:3], v0, off
.LBB5_2:
	s_endpgm
	.section	.rodata,"a",@progbits
	.p2align	6, 0x0
	.amdhsa_kernel _ZL19rocblas_axpy_kernelIiLi256EDF16_DF16_PKDF16_PDF16_EviT2_lT3_lT_lT4_lS5_li
		.amdhsa_group_segment_fixed_size 0
		.amdhsa_private_segment_fixed_size 0
		.amdhsa_kernarg_size 84
		.amdhsa_user_sgpr_count 6
		.amdhsa_user_sgpr_private_segment_buffer 1
		.amdhsa_user_sgpr_dispatch_ptr 0
		.amdhsa_user_sgpr_queue_ptr 0
		.amdhsa_user_sgpr_kernarg_segment_ptr 1
		.amdhsa_user_sgpr_dispatch_id 0
		.amdhsa_user_sgpr_flat_scratch_init 0
		.amdhsa_user_sgpr_private_segment_size 0
		.amdhsa_uses_dynamic_stack 0
		.amdhsa_system_sgpr_private_segment_wavefront_offset 0
		.amdhsa_system_sgpr_workgroup_id_x 1
		.amdhsa_system_sgpr_workgroup_id_y 0
		.amdhsa_system_sgpr_workgroup_id_z 1
		.amdhsa_system_sgpr_workgroup_info 0
		.amdhsa_system_vgpr_workitem_id 0
		.amdhsa_next_free_vgpr 7
		.amdhsa_next_free_sgpr 18
		.amdhsa_reserve_vcc 1
		.amdhsa_reserve_flat_scratch 0
		.amdhsa_float_round_mode_32 0
		.amdhsa_float_round_mode_16_64 0
		.amdhsa_float_denorm_mode_32 3
		.amdhsa_float_denorm_mode_16_64 3
		.amdhsa_dx10_clamp 1
		.amdhsa_ieee_mode 1
		.amdhsa_fp16_overflow 0
		.amdhsa_exception_fp_ieee_invalid_op 0
		.amdhsa_exception_fp_denorm_src 0
		.amdhsa_exception_fp_ieee_div_zero 0
		.amdhsa_exception_fp_ieee_overflow 0
		.amdhsa_exception_fp_ieee_underflow 0
		.amdhsa_exception_fp_ieee_inexact 0
		.amdhsa_exception_int_div_zero 0
	.end_amdhsa_kernel
	.section	.text._ZL19rocblas_axpy_kernelIiLi256EDF16_DF16_PKDF16_PDF16_EviT2_lT3_lT_lT4_lS5_li,"axG",@progbits,_ZL19rocblas_axpy_kernelIiLi256EDF16_DF16_PKDF16_PDF16_EviT2_lT3_lT_lT4_lS5_li,comdat
.Lfunc_end5:
	.size	_ZL19rocblas_axpy_kernelIiLi256EDF16_DF16_PKDF16_PDF16_EviT2_lT3_lT_lT4_lS5_li, .Lfunc_end5-_ZL19rocblas_axpy_kernelIiLi256EDF16_DF16_PKDF16_PDF16_EviT2_lT3_lT_lT4_lS5_li
                                        ; -- End function
	.set _ZL19rocblas_axpy_kernelIiLi256EDF16_DF16_PKDF16_PDF16_EviT2_lT3_lT_lT4_lS5_li.num_vgpr, 7
	.set _ZL19rocblas_axpy_kernelIiLi256EDF16_DF16_PKDF16_PDF16_EviT2_lT3_lT_lT4_lS5_li.num_agpr, 0
	.set _ZL19rocblas_axpy_kernelIiLi256EDF16_DF16_PKDF16_PDF16_EviT2_lT3_lT_lT4_lS5_li.numbered_sgpr, 18
	.set _ZL19rocblas_axpy_kernelIiLi256EDF16_DF16_PKDF16_PDF16_EviT2_lT3_lT_lT4_lS5_li.num_named_barrier, 0
	.set _ZL19rocblas_axpy_kernelIiLi256EDF16_DF16_PKDF16_PDF16_EviT2_lT3_lT_lT4_lS5_li.private_seg_size, 0
	.set _ZL19rocblas_axpy_kernelIiLi256EDF16_DF16_PKDF16_PDF16_EviT2_lT3_lT_lT4_lS5_li.uses_vcc, 1
	.set _ZL19rocblas_axpy_kernelIiLi256EDF16_DF16_PKDF16_PDF16_EviT2_lT3_lT_lT4_lS5_li.uses_flat_scratch, 0
	.set _ZL19rocblas_axpy_kernelIiLi256EDF16_DF16_PKDF16_PDF16_EviT2_lT3_lT_lT4_lS5_li.has_dyn_sized_stack, 0
	.set _ZL19rocblas_axpy_kernelIiLi256EDF16_DF16_PKDF16_PDF16_EviT2_lT3_lT_lT4_lS5_li.has_recursion, 0
	.set _ZL19rocblas_axpy_kernelIiLi256EDF16_DF16_PKDF16_PDF16_EviT2_lT3_lT_lT4_lS5_li.has_indirect_call, 0
	.section	.AMDGPU.csdata,"",@progbits
; Kernel info:
; codeLenInByte = 316
; TotalNumSgprs: 22
; NumVgprs: 7
; ScratchSize: 0
; MemoryBound: 0
; FloatMode: 240
; IeeeMode: 1
; LDSByteSize: 0 bytes/workgroup (compile time only)
; SGPRBlocks: 2
; VGPRBlocks: 1
; NumSGPRsForWavesPerEU: 22
; NumVGPRsForWavesPerEU: 7
; Occupancy: 10
; WaveLimiterHint : 0
; COMPUTE_PGM_RSRC2:SCRATCH_EN: 0
; COMPUTE_PGM_RSRC2:USER_SGPR: 6
; COMPUTE_PGM_RSRC2:TRAP_HANDLER: 0
; COMPUTE_PGM_RSRC2:TGID_X_EN: 1
; COMPUTE_PGM_RSRC2:TGID_Y_EN: 0
; COMPUTE_PGM_RSRC2:TGID_Z_EN: 1
; COMPUTE_PGM_RSRC2:TIDIG_COMP_CNT: 0
	.section	.text._ZL26rocblas_haxpy_mlt_8_kernelILi256EPKDF16_PKfPfEviT0_lT1_llT2_lli,"axG",@progbits,_ZL26rocblas_haxpy_mlt_8_kernelILi256EPKDF16_PKfPfEviT0_lT1_llT2_lli,comdat
	.globl	_ZL26rocblas_haxpy_mlt_8_kernelILi256EPKDF16_PKfPfEviT0_lT1_llT2_lli ; -- Begin function _ZL26rocblas_haxpy_mlt_8_kernelILi256EPKDF16_PKfPfEviT0_lT1_llT2_lli
	.p2align	8
	.type	_ZL26rocblas_haxpy_mlt_8_kernelILi256EPKDF16_PKfPfEviT0_lT1_llT2_lli,@function
_ZL26rocblas_haxpy_mlt_8_kernelILi256EPKDF16_PKfPfEviT0_lT1_llT2_lli: ; @_ZL26rocblas_haxpy_mlt_8_kernelILi256EPKDF16_PKfPfEviT0_lT1_llT2_lli
; %bb.0:
	s_load_dwordx16 s[8:23], s[4:5], 0x8
	v_mov_b32_e32 v1, 0
	s_waitcnt lgkmcnt(0)
	s_mul_i32 s0, s11, s7
	s_mul_hi_u32 s1, s10, s7
	s_add_i32 s1, s1, s0
	s_mul_i32 s0, s10, s7
	s_lshl_b64 s[0:1], s[0:1], 1
	s_add_u32 s0, s8, s0
	s_addc_u32 s1, s9, s1
	global_load_ushort v2, v1, s[0:1]
	s_waitcnt vmcnt(0)
	v_and_b32_e32 v3, 0xffff, v2
	v_lshl_or_b32 v3, v2, 16, v3
	v_and_b32_e32 v3, 0x7fff, v3
	v_cmp_eq_u32_e32 vcc, 0, v3
	s_cbranch_vccnz .LBB6_3
; %bb.1:
	s_load_dword s0, s[4:5], 0x0
	v_lshl_or_b32 v0, s6, 8, v0
	v_lshlrev_b64 v[0:1], 3, v[0:1]
	s_waitcnt lgkmcnt(0)
	s_ashr_i32 s1, s0, 31
	v_cmp_gt_i64_e32 vcc, s[0:1], v[0:1]
	s_and_saveexec_b64 s[0:1], vcc
	s_cbranch_execz .LBB6_3
; %bb.2:
	s_mul_i32 s0, s17, s7
	s_mul_hi_u32 s1, s16, s7
	s_add_i32 s1, s1, s0
	s_mul_i32 s0, s16, s7
	s_lshl_b64 s[0:1], s[0:1], 2
	s_add_u32 s2, s12, s0
	s_addc_u32 s3, s13, s1
	s_lshl_b64 s[0:1], s[14:15], 2
	s_add_u32 s0, s2, s0
	v_lshlrev_b64 v[0:1], 2, v[0:1]
	s_addc_u32 s1, s3, s1
	v_mov_b32_e32 v3, s1
	v_add_co_u32_e32 v11, vcc, s0, v0
	s_mul_i32 s0, s23, s7
	s_mul_hi_u32 s1, s22, s7
	s_add_i32 s1, s1, s0
	s_mul_i32 s0, s22, s7
	s_lshl_b64 s[0:1], s[0:1], 2
	s_add_u32 s2, s18, s0
	s_addc_u32 s3, s19, s1
	s_lshl_b64 s[0:1], s[20:21], 2
	s_add_u32 s0, s2, s0
	v_addc_co_u32_e32 v12, vcc, v3, v1, vcc
	s_addc_u32 s1, s3, s1
	v_mov_b32_e32 v3, s1
	v_add_co_u32_e32 v0, vcc, s0, v0
	v_addc_co_u32_e32 v1, vcc, v3, v1, vcc
	global_load_dwordx4 v[3:6], v[11:12], off
	global_load_dwordx4 v[7:10], v[0:1], off
	s_waitcnt vmcnt(0)
	v_pk_fma_f16 v6, v2, v6, v10 op_sel_hi:[0,1,1]
	v_pk_fma_f16 v5, v2, v5, v9 op_sel_hi:[0,1,1]
	;; [unrolled: 1-line block ×4, first 2 shown]
	global_store_dwordx4 v[0:1], v[3:6], off
.LBB6_3:
	s_endpgm
	.section	.rodata,"a",@progbits
	.p2align	6, 0x0
	.amdhsa_kernel _ZL26rocblas_haxpy_mlt_8_kernelILi256EPKDF16_PKfPfEviT0_lT1_llT2_lli
		.amdhsa_group_segment_fixed_size 0
		.amdhsa_private_segment_fixed_size 0
		.amdhsa_kernarg_size 76
		.amdhsa_user_sgpr_count 6
		.amdhsa_user_sgpr_private_segment_buffer 1
		.amdhsa_user_sgpr_dispatch_ptr 0
		.amdhsa_user_sgpr_queue_ptr 0
		.amdhsa_user_sgpr_kernarg_segment_ptr 1
		.amdhsa_user_sgpr_dispatch_id 0
		.amdhsa_user_sgpr_flat_scratch_init 0
		.amdhsa_user_sgpr_private_segment_size 0
		.amdhsa_uses_dynamic_stack 0
		.amdhsa_system_sgpr_private_segment_wavefront_offset 0
		.amdhsa_system_sgpr_workgroup_id_x 1
		.amdhsa_system_sgpr_workgroup_id_y 0
		.amdhsa_system_sgpr_workgroup_id_z 1
		.amdhsa_system_sgpr_workgroup_info 0
		.amdhsa_system_vgpr_workitem_id 0
		.amdhsa_next_free_vgpr 13
		.amdhsa_next_free_sgpr 24
		.amdhsa_reserve_vcc 1
		.amdhsa_reserve_flat_scratch 0
		.amdhsa_float_round_mode_32 0
		.amdhsa_float_round_mode_16_64 0
		.amdhsa_float_denorm_mode_32 3
		.amdhsa_float_denorm_mode_16_64 3
		.amdhsa_dx10_clamp 1
		.amdhsa_ieee_mode 1
		.amdhsa_fp16_overflow 0
		.amdhsa_exception_fp_ieee_invalid_op 0
		.amdhsa_exception_fp_denorm_src 0
		.amdhsa_exception_fp_ieee_div_zero 0
		.amdhsa_exception_fp_ieee_overflow 0
		.amdhsa_exception_fp_ieee_underflow 0
		.amdhsa_exception_fp_ieee_inexact 0
		.amdhsa_exception_int_div_zero 0
	.end_amdhsa_kernel
	.section	.text._ZL26rocblas_haxpy_mlt_8_kernelILi256EPKDF16_PKfPfEviT0_lT1_llT2_lli,"axG",@progbits,_ZL26rocblas_haxpy_mlt_8_kernelILi256EPKDF16_PKfPfEviT0_lT1_llT2_lli,comdat
.Lfunc_end6:
	.size	_ZL26rocblas_haxpy_mlt_8_kernelILi256EPKDF16_PKfPfEviT0_lT1_llT2_lli, .Lfunc_end6-_ZL26rocblas_haxpy_mlt_8_kernelILi256EPKDF16_PKfPfEviT0_lT1_llT2_lli
                                        ; -- End function
	.set _ZL26rocblas_haxpy_mlt_8_kernelILi256EPKDF16_PKfPfEviT0_lT1_llT2_lli.num_vgpr, 13
	.set _ZL26rocblas_haxpy_mlt_8_kernelILi256EPKDF16_PKfPfEviT0_lT1_llT2_lli.num_agpr, 0
	.set _ZL26rocblas_haxpy_mlt_8_kernelILi256EPKDF16_PKfPfEviT0_lT1_llT2_lli.numbered_sgpr, 24
	.set _ZL26rocblas_haxpy_mlt_8_kernelILi256EPKDF16_PKfPfEviT0_lT1_llT2_lli.num_named_barrier, 0
	.set _ZL26rocblas_haxpy_mlt_8_kernelILi256EPKDF16_PKfPfEviT0_lT1_llT2_lli.private_seg_size, 0
	.set _ZL26rocblas_haxpy_mlt_8_kernelILi256EPKDF16_PKfPfEviT0_lT1_llT2_lli.uses_vcc, 1
	.set _ZL26rocblas_haxpy_mlt_8_kernelILi256EPKDF16_PKfPfEviT0_lT1_llT2_lli.uses_flat_scratch, 0
	.set _ZL26rocblas_haxpy_mlt_8_kernelILi256EPKDF16_PKfPfEviT0_lT1_llT2_lli.has_dyn_sized_stack, 0
	.set _ZL26rocblas_haxpy_mlt_8_kernelILi256EPKDF16_PKfPfEviT0_lT1_llT2_lli.has_recursion, 0
	.set _ZL26rocblas_haxpy_mlt_8_kernelILi256EPKDF16_PKfPfEviT0_lT1_llT2_lli.has_indirect_call, 0
	.section	.AMDGPU.csdata,"",@progbits
; Kernel info:
; codeLenInByte = 308
; TotalNumSgprs: 28
; NumVgprs: 13
; ScratchSize: 0
; MemoryBound: 0
; FloatMode: 240
; IeeeMode: 1
; LDSByteSize: 0 bytes/workgroup (compile time only)
; SGPRBlocks: 3
; VGPRBlocks: 3
; NumSGPRsForWavesPerEU: 28
; NumVGPRsForWavesPerEU: 13
; Occupancy: 10
; WaveLimiterHint : 0
; COMPUTE_PGM_RSRC2:SCRATCH_EN: 0
; COMPUTE_PGM_RSRC2:USER_SGPR: 6
; COMPUTE_PGM_RSRC2:TRAP_HANDLER: 0
; COMPUTE_PGM_RSRC2:TGID_X_EN: 1
; COMPUTE_PGM_RSRC2:TGID_Y_EN: 0
; COMPUTE_PGM_RSRC2:TGID_Z_EN: 1
; COMPUTE_PGM_RSRC2:TIDIG_COMP_CNT: 0
	.section	.text._ZL26rocblas_haxpy_mod_8_kernelILi256EPKfS1_PfEviT0_lT1_llT2_lli,"axG",@progbits,_ZL26rocblas_haxpy_mod_8_kernelILi256EPKfS1_PfEviT0_lT1_llT2_lli,comdat
	.globl	_ZL26rocblas_haxpy_mod_8_kernelILi256EPKfS1_PfEviT0_lT1_llT2_lli ; -- Begin function _ZL26rocblas_haxpy_mod_8_kernelILi256EPKfS1_PfEviT0_lT1_llT2_lli
	.p2align	8
	.type	_ZL26rocblas_haxpy_mod_8_kernelILi256EPKfS1_PfEviT0_lT1_llT2_lli,@function
_ZL26rocblas_haxpy_mod_8_kernelILi256EPKfS1_PfEviT0_lT1_llT2_lli: ; @_ZL26rocblas_haxpy_mod_8_kernelILi256EPKfS1_PfEviT0_lT1_llT2_lli
; %bb.0:
	s_load_dword s2, s[4:5], 0x0
	s_load_dwordx16 s[8:23], s[4:5], 0x8
	v_lshl_or_b32 v0, s6, 8, v0
	v_mov_b32_e32 v1, 0
	s_waitcnt lgkmcnt(0)
	s_ashr_i32 s3, s2, 31
	s_mul_i32 s0, s11, s7
	s_mul_hi_u32 s1, s10, s7
	s_add_i32 s1, s1, s0
	s_mul_i32 s0, s10, s7
	s_lshl_b64 s[0:1], s[0:1], 2
	s_add_u32 s0, s8, s0
	s_addc_u32 s1, s9, s1
	s_load_dword s0, s[0:1], 0x0
	v_cmp_gt_i64_e32 vcc, s[2:3], v[0:1]
	s_waitcnt lgkmcnt(0)
	v_cmp_neq_f32_e64 s[2:3], s0, 0
	s_and_b64 s[2:3], vcc, s[2:3]
	s_and_saveexec_b64 s[4:5], s[2:3]
	s_cbranch_execz .LBB7_2
; %bb.1:
	s_mul_i32 s1, s17, s7
	s_mul_hi_u32 s2, s16, s7
	s_add_i32 s3, s2, s1
	s_mul_i32 s2, s16, s7
	s_lshl_b64 s[2:3], s[2:3], 2
	s_add_u32 s1, s12, s2
	s_addc_u32 s4, s13, s3
	s_lshl_b64 s[2:3], s[14:15], 2
	s_add_u32 s1, s1, s2
	v_lshlrev_b64 v[0:1], 2, v[0:1]
	s_addc_u32 s2, s4, s3
	v_mov_b32_e32 v3, s2
	v_add_co_u32_e32 v2, vcc, s1, v0
	s_mul_i32 s1, s23, s7
	s_mul_hi_u32 s2, s22, s7
	s_add_i32 s3, s2, s1
	s_mul_i32 s2, s22, s7
	s_lshl_b64 s[2:3], s[2:3], 2
	s_add_u32 s1, s18, s2
	s_addc_u32 s4, s19, s3
	s_lshl_b64 s[2:3], s[20:21], 2
	s_add_u32 s1, s1, s2
	v_addc_co_u32_e32 v3, vcc, v3, v1, vcc
	s_addc_u32 s2, s4, s3
	v_mov_b32_e32 v4, s2
	v_add_co_u32_e32 v0, vcc, s1, v0
	v_addc_co_u32_e32 v1, vcc, v4, v1, vcc
	global_load_dword v4, v[2:3], off
	global_load_dword v5, v[0:1], off
	s_waitcnt vmcnt(0)
	v_fmac_f32_e32 v5, s0, v4
	global_store_dword v[0:1], v5, off
.LBB7_2:
	s_endpgm
	.section	.rodata,"a",@progbits
	.p2align	6, 0x0
	.amdhsa_kernel _ZL26rocblas_haxpy_mod_8_kernelILi256EPKfS1_PfEviT0_lT1_llT2_lli
		.amdhsa_group_segment_fixed_size 0
		.amdhsa_private_segment_fixed_size 0
		.amdhsa_kernarg_size 76
		.amdhsa_user_sgpr_count 6
		.amdhsa_user_sgpr_private_segment_buffer 1
		.amdhsa_user_sgpr_dispatch_ptr 0
		.amdhsa_user_sgpr_queue_ptr 0
		.amdhsa_user_sgpr_kernarg_segment_ptr 1
		.amdhsa_user_sgpr_dispatch_id 0
		.amdhsa_user_sgpr_flat_scratch_init 0
		.amdhsa_user_sgpr_private_segment_size 0
		.amdhsa_uses_dynamic_stack 0
		.amdhsa_system_sgpr_private_segment_wavefront_offset 0
		.amdhsa_system_sgpr_workgroup_id_x 1
		.amdhsa_system_sgpr_workgroup_id_y 0
		.amdhsa_system_sgpr_workgroup_id_z 1
		.amdhsa_system_sgpr_workgroup_info 0
		.amdhsa_system_vgpr_workitem_id 0
		.amdhsa_next_free_vgpr 6
		.amdhsa_next_free_sgpr 24
		.amdhsa_reserve_vcc 1
		.amdhsa_reserve_flat_scratch 0
		.amdhsa_float_round_mode_32 0
		.amdhsa_float_round_mode_16_64 0
		.amdhsa_float_denorm_mode_32 3
		.amdhsa_float_denorm_mode_16_64 3
		.amdhsa_dx10_clamp 1
		.amdhsa_ieee_mode 1
		.amdhsa_fp16_overflow 0
		.amdhsa_exception_fp_ieee_invalid_op 0
		.amdhsa_exception_fp_denorm_src 0
		.amdhsa_exception_fp_ieee_div_zero 0
		.amdhsa_exception_fp_ieee_overflow 0
		.amdhsa_exception_fp_ieee_underflow 0
		.amdhsa_exception_fp_ieee_inexact 0
		.amdhsa_exception_int_div_zero 0
	.end_amdhsa_kernel
	.section	.text._ZL26rocblas_haxpy_mod_8_kernelILi256EPKfS1_PfEviT0_lT1_llT2_lli,"axG",@progbits,_ZL26rocblas_haxpy_mod_8_kernelILi256EPKfS1_PfEviT0_lT1_llT2_lli,comdat
.Lfunc_end7:
	.size	_ZL26rocblas_haxpy_mod_8_kernelILi256EPKfS1_PfEviT0_lT1_llT2_lli, .Lfunc_end7-_ZL26rocblas_haxpy_mod_8_kernelILi256EPKfS1_PfEviT0_lT1_llT2_lli
                                        ; -- End function
	.set _ZL26rocblas_haxpy_mod_8_kernelILi256EPKfS1_PfEviT0_lT1_llT2_lli.num_vgpr, 6
	.set _ZL26rocblas_haxpy_mod_8_kernelILi256EPKfS1_PfEviT0_lT1_llT2_lli.num_agpr, 0
	.set _ZL26rocblas_haxpy_mod_8_kernelILi256EPKfS1_PfEviT0_lT1_llT2_lli.numbered_sgpr, 24
	.set _ZL26rocblas_haxpy_mod_8_kernelILi256EPKfS1_PfEviT0_lT1_llT2_lli.num_named_barrier, 0
	.set _ZL26rocblas_haxpy_mod_8_kernelILi256EPKfS1_PfEviT0_lT1_llT2_lli.private_seg_size, 0
	.set _ZL26rocblas_haxpy_mod_8_kernelILi256EPKfS1_PfEviT0_lT1_llT2_lli.uses_vcc, 1
	.set _ZL26rocblas_haxpy_mod_8_kernelILi256EPKfS1_PfEviT0_lT1_llT2_lli.uses_flat_scratch, 0
	.set _ZL26rocblas_haxpy_mod_8_kernelILi256EPKfS1_PfEviT0_lT1_llT2_lli.has_dyn_sized_stack, 0
	.set _ZL26rocblas_haxpy_mod_8_kernelILi256EPKfS1_PfEviT0_lT1_llT2_lli.has_recursion, 0
	.set _ZL26rocblas_haxpy_mod_8_kernelILi256EPKfS1_PfEviT0_lT1_llT2_lli.has_indirect_call, 0
	.section	.AMDGPU.csdata,"",@progbits
; Kernel info:
; codeLenInByte = 248
; TotalNumSgprs: 28
; NumVgprs: 6
; ScratchSize: 0
; MemoryBound: 0
; FloatMode: 240
; IeeeMode: 1
; LDSByteSize: 0 bytes/workgroup (compile time only)
; SGPRBlocks: 3
; VGPRBlocks: 1
; NumSGPRsForWavesPerEU: 28
; NumVGPRsForWavesPerEU: 6
; Occupancy: 10
; WaveLimiterHint : 0
; COMPUTE_PGM_RSRC2:SCRATCH_EN: 0
; COMPUTE_PGM_RSRC2:USER_SGPR: 6
; COMPUTE_PGM_RSRC2:TRAP_HANDLER: 0
; COMPUTE_PGM_RSRC2:TGID_X_EN: 1
; COMPUTE_PGM_RSRC2:TGID_Y_EN: 0
; COMPUTE_PGM_RSRC2:TGID_Z_EN: 1
; COMPUTE_PGM_RSRC2:TIDIG_COMP_CNT: 0
	.section	.text._ZL26rocblas_haxpy_mlt_8_kernelILi256EDF16_PKfPfEviT0_lT1_llT2_lli,"axG",@progbits,_ZL26rocblas_haxpy_mlt_8_kernelILi256EDF16_PKfPfEviT0_lT1_llT2_lli,comdat
	.globl	_ZL26rocblas_haxpy_mlt_8_kernelILi256EDF16_PKfPfEviT0_lT1_llT2_lli ; -- Begin function _ZL26rocblas_haxpy_mlt_8_kernelILi256EDF16_PKfPfEviT0_lT1_llT2_lli
	.p2align	8
	.type	_ZL26rocblas_haxpy_mlt_8_kernelILi256EDF16_PKfPfEviT0_lT1_llT2_lli,@function
_ZL26rocblas_haxpy_mlt_8_kernelILi256EDF16_PKfPfEviT0_lT1_llT2_lli: ; @_ZL26rocblas_haxpy_mlt_8_kernelILi256EDF16_PKfPfEviT0_lT1_llT2_lli
; %bb.0:
	s_load_dwordx2 s[0:1], s[4:5], 0x0
	s_waitcnt lgkmcnt(0)
	s_pack_ll_b32_b16 s2, s1, s1
	s_and_b32 s2, s2, 0x7fff
	s_cmp_eq_u32 s2, 0
	s_cbranch_scc1 .LBB8_3
; %bb.1:
	v_lshl_or_b32 v0, s6, 8, v0
	v_mov_b32_e32 v1, 0
	v_lshlrev_b64 v[0:1], 3, v[0:1]
	s_ashr_i32 s3, s0, 31
	s_mov_b32 s2, s0
	v_cmp_gt_i64_e32 vcc, s[2:3], v[0:1]
	s_and_saveexec_b64 s[2:3], vcc
	s_cbranch_execz .LBB8_3
; %bb.2:
	s_load_dwordx8 s[8:15], s[4:5], 0x10
	s_load_dwordx4 s[16:19], s[4:5], 0x30
	v_lshlrev_b64 v[0:1], 2, v[0:1]
	s_waitcnt lgkmcnt(0)
	s_mul_i32 s0, s13, s7
	s_mul_hi_u32 s3, s12, s7
	s_mul_i32 s2, s12, s7
	s_add_i32 s3, s3, s0
	s_lshl_b64 s[2:3], s[2:3], 2
	s_add_u32 s0, s8, s2
	s_addc_u32 s4, s9, s3
	s_lshl_b64 s[2:3], s[10:11], 2
	s_add_u32 s0, s0, s2
	s_addc_u32 s2, s4, s3
	v_mov_b32_e32 v2, s2
	v_add_co_u32_e32 v8, vcc, s0, v0
	s_mul_i32 s0, s19, s7
	s_mul_hi_u32 s2, s18, s7
	s_add_i32 s3, s2, s0
	s_mul_i32 s2, s18, s7
	s_lshl_b64 s[2:3], s[2:3], 2
	s_add_u32 s0, s14, s2
	s_addc_u32 s4, s15, s3
	s_lshl_b64 s[2:3], s[16:17], 2
	s_add_u32 s0, s0, s2
	v_addc_co_u32_e32 v9, vcc, v2, v1, vcc
	s_addc_u32 s2, s4, s3
	v_mov_b32_e32 v2, s2
	v_add_co_u32_e32 v10, vcc, s0, v0
	v_addc_co_u32_e32 v11, vcc, v2, v1, vcc
	global_load_dwordx4 v[0:3], v[8:9], off
	global_load_dwordx4 v[4:7], v[10:11], off
	s_waitcnt vmcnt(0)
	v_pk_fma_f16 v3, s1, v3, v7 op_sel_hi:[0,1,1]
	v_pk_fma_f16 v2, s1, v2, v6 op_sel_hi:[0,1,1]
	;; [unrolled: 1-line block ×4, first 2 shown]
	global_store_dwordx4 v[10:11], v[0:3], off
.LBB8_3:
	s_endpgm
	.section	.rodata,"a",@progbits
	.p2align	6, 0x0
	.amdhsa_kernel _ZL26rocblas_haxpy_mlt_8_kernelILi256EDF16_PKfPfEviT0_lT1_llT2_lli
		.amdhsa_group_segment_fixed_size 0
		.amdhsa_private_segment_fixed_size 0
		.amdhsa_kernarg_size 68
		.amdhsa_user_sgpr_count 6
		.amdhsa_user_sgpr_private_segment_buffer 1
		.amdhsa_user_sgpr_dispatch_ptr 0
		.amdhsa_user_sgpr_queue_ptr 0
		.amdhsa_user_sgpr_kernarg_segment_ptr 1
		.amdhsa_user_sgpr_dispatch_id 0
		.amdhsa_user_sgpr_flat_scratch_init 0
		.amdhsa_user_sgpr_private_segment_size 0
		.amdhsa_uses_dynamic_stack 0
		.amdhsa_system_sgpr_private_segment_wavefront_offset 0
		.amdhsa_system_sgpr_workgroup_id_x 1
		.amdhsa_system_sgpr_workgroup_id_y 0
		.amdhsa_system_sgpr_workgroup_id_z 1
		.amdhsa_system_sgpr_workgroup_info 0
		.amdhsa_system_vgpr_workitem_id 0
		.amdhsa_next_free_vgpr 12
		.amdhsa_next_free_sgpr 20
		.amdhsa_reserve_vcc 1
		.amdhsa_reserve_flat_scratch 0
		.amdhsa_float_round_mode_32 0
		.amdhsa_float_round_mode_16_64 0
		.amdhsa_float_denorm_mode_32 3
		.amdhsa_float_denorm_mode_16_64 3
		.amdhsa_dx10_clamp 1
		.amdhsa_ieee_mode 1
		.amdhsa_fp16_overflow 0
		.amdhsa_exception_fp_ieee_invalid_op 0
		.amdhsa_exception_fp_denorm_src 0
		.amdhsa_exception_fp_ieee_div_zero 0
		.amdhsa_exception_fp_ieee_overflow 0
		.amdhsa_exception_fp_ieee_underflow 0
		.amdhsa_exception_fp_ieee_inexact 0
		.amdhsa_exception_int_div_zero 0
	.end_amdhsa_kernel
	.section	.text._ZL26rocblas_haxpy_mlt_8_kernelILi256EDF16_PKfPfEviT0_lT1_llT2_lli,"axG",@progbits,_ZL26rocblas_haxpy_mlt_8_kernelILi256EDF16_PKfPfEviT0_lT1_llT2_lli,comdat
.Lfunc_end8:
	.size	_ZL26rocblas_haxpy_mlt_8_kernelILi256EDF16_PKfPfEviT0_lT1_llT2_lli, .Lfunc_end8-_ZL26rocblas_haxpy_mlt_8_kernelILi256EDF16_PKfPfEviT0_lT1_llT2_lli
                                        ; -- End function
	.set _ZL26rocblas_haxpy_mlt_8_kernelILi256EDF16_PKfPfEviT0_lT1_llT2_lli.num_vgpr, 12
	.set _ZL26rocblas_haxpy_mlt_8_kernelILi256EDF16_PKfPfEviT0_lT1_llT2_lli.num_agpr, 0
	.set _ZL26rocblas_haxpy_mlt_8_kernelILi256EDF16_PKfPfEviT0_lT1_llT2_lli.numbered_sgpr, 20
	.set _ZL26rocblas_haxpy_mlt_8_kernelILi256EDF16_PKfPfEviT0_lT1_llT2_lli.num_named_barrier, 0
	.set _ZL26rocblas_haxpy_mlt_8_kernelILi256EDF16_PKfPfEviT0_lT1_llT2_lli.private_seg_size, 0
	.set _ZL26rocblas_haxpy_mlt_8_kernelILi256EDF16_PKfPfEviT0_lT1_llT2_lli.uses_vcc, 1
	.set _ZL26rocblas_haxpy_mlt_8_kernelILi256EDF16_PKfPfEviT0_lT1_llT2_lli.uses_flat_scratch, 0
	.set _ZL26rocblas_haxpy_mlt_8_kernelILi256EDF16_PKfPfEviT0_lT1_llT2_lli.has_dyn_sized_stack, 0
	.set _ZL26rocblas_haxpy_mlt_8_kernelILi256EDF16_PKfPfEviT0_lT1_llT2_lli.has_recursion, 0
	.set _ZL26rocblas_haxpy_mlt_8_kernelILi256EDF16_PKfPfEviT0_lT1_llT2_lli.has_indirect_call, 0
	.section	.AMDGPU.csdata,"",@progbits
; Kernel info:
; codeLenInByte = 268
; TotalNumSgprs: 24
; NumVgprs: 12
; ScratchSize: 0
; MemoryBound: 0
; FloatMode: 240
; IeeeMode: 1
; LDSByteSize: 0 bytes/workgroup (compile time only)
; SGPRBlocks: 2
; VGPRBlocks: 2
; NumSGPRsForWavesPerEU: 24
; NumVGPRsForWavesPerEU: 12
; Occupancy: 10
; WaveLimiterHint : 0
; COMPUTE_PGM_RSRC2:SCRATCH_EN: 0
; COMPUTE_PGM_RSRC2:USER_SGPR: 6
; COMPUTE_PGM_RSRC2:TRAP_HANDLER: 0
; COMPUTE_PGM_RSRC2:TGID_X_EN: 1
; COMPUTE_PGM_RSRC2:TGID_Y_EN: 0
; COMPUTE_PGM_RSRC2:TGID_Z_EN: 1
; COMPUTE_PGM_RSRC2:TIDIG_COMP_CNT: 0
	.section	.text._ZL26rocblas_haxpy_mod_8_kernelILi256EfPKfPfEviT0_lT1_llT2_lli,"axG",@progbits,_ZL26rocblas_haxpy_mod_8_kernelILi256EfPKfPfEviT0_lT1_llT2_lli,comdat
	.globl	_ZL26rocblas_haxpy_mod_8_kernelILi256EfPKfPfEviT0_lT1_llT2_lli ; -- Begin function _ZL26rocblas_haxpy_mod_8_kernelILi256EfPKfPfEviT0_lT1_llT2_lli
	.p2align	8
	.type	_ZL26rocblas_haxpy_mod_8_kernelILi256EfPKfPfEviT0_lT1_llT2_lli,@function
_ZL26rocblas_haxpy_mod_8_kernelILi256EfPKfPfEviT0_lT1_llT2_lli: ; @_ZL26rocblas_haxpy_mod_8_kernelILi256EfPKfPfEviT0_lT1_llT2_lli
; %bb.0:
	s_load_dwordx2 s[0:1], s[4:5], 0x0
	v_lshl_or_b32 v0, s6, 8, v0
	v_mov_b32_e32 v1, 0
	s_waitcnt lgkmcnt(0)
	s_ashr_i32 s3, s0, 31
	s_mov_b32 s2, s0
	v_cmp_gt_i64_e32 vcc, s[2:3], v[0:1]
	v_cmp_neq_f32_e64 s[2:3], s1, 0
	s_and_b64 s[2:3], s[2:3], vcc
	s_and_saveexec_b64 s[8:9], s[2:3]
	s_cbranch_execz .LBB9_2
; %bb.1:
	s_load_dwordx8 s[8:15], s[4:5], 0x10
	s_load_dwordx4 s[16:19], s[4:5], 0x30
	v_lshlrev_b64 v[0:1], 2, v[0:1]
	s_waitcnt lgkmcnt(0)
	s_mul_i32 s0, s13, s7
	s_mul_hi_u32 s3, s12, s7
	s_mul_i32 s2, s12, s7
	s_add_i32 s3, s3, s0
	s_lshl_b64 s[2:3], s[2:3], 2
	s_add_u32 s0, s8, s2
	s_addc_u32 s4, s9, s3
	s_lshl_b64 s[2:3], s[10:11], 2
	s_add_u32 s0, s0, s2
	s_addc_u32 s2, s4, s3
	v_mov_b32_e32 v3, s2
	v_add_co_u32_e32 v2, vcc, s0, v0
	s_mul_i32 s0, s19, s7
	s_mul_hi_u32 s2, s18, s7
	s_add_i32 s3, s2, s0
	s_mul_i32 s2, s18, s7
	s_lshl_b64 s[2:3], s[2:3], 2
	s_add_u32 s0, s14, s2
	s_addc_u32 s4, s15, s3
	s_lshl_b64 s[2:3], s[16:17], 2
	s_add_u32 s0, s0, s2
	v_addc_co_u32_e32 v3, vcc, v3, v1, vcc
	s_addc_u32 s2, s4, s3
	v_mov_b32_e32 v4, s2
	v_add_co_u32_e32 v0, vcc, s0, v0
	v_addc_co_u32_e32 v1, vcc, v4, v1, vcc
	global_load_dword v4, v[2:3], off
	global_load_dword v5, v[0:1], off
	s_waitcnt vmcnt(0)
	v_fmac_f32_e32 v5, s1, v4
	global_store_dword v[0:1], v5, off
.LBB9_2:
	s_endpgm
	.section	.rodata,"a",@progbits
	.p2align	6, 0x0
	.amdhsa_kernel _ZL26rocblas_haxpy_mod_8_kernelILi256EfPKfPfEviT0_lT1_llT2_lli
		.amdhsa_group_segment_fixed_size 0
		.amdhsa_private_segment_fixed_size 0
		.amdhsa_kernarg_size 68
		.amdhsa_user_sgpr_count 6
		.amdhsa_user_sgpr_private_segment_buffer 1
		.amdhsa_user_sgpr_dispatch_ptr 0
		.amdhsa_user_sgpr_queue_ptr 0
		.amdhsa_user_sgpr_kernarg_segment_ptr 1
		.amdhsa_user_sgpr_dispatch_id 0
		.amdhsa_user_sgpr_flat_scratch_init 0
		.amdhsa_user_sgpr_private_segment_size 0
		.amdhsa_uses_dynamic_stack 0
		.amdhsa_system_sgpr_private_segment_wavefront_offset 0
		.amdhsa_system_sgpr_workgroup_id_x 1
		.amdhsa_system_sgpr_workgroup_id_y 0
		.amdhsa_system_sgpr_workgroup_id_z 1
		.amdhsa_system_sgpr_workgroup_info 0
		.amdhsa_system_vgpr_workitem_id 0
		.amdhsa_next_free_vgpr 6
		.amdhsa_next_free_sgpr 20
		.amdhsa_reserve_vcc 1
		.amdhsa_reserve_flat_scratch 0
		.amdhsa_float_round_mode_32 0
		.amdhsa_float_round_mode_16_64 0
		.amdhsa_float_denorm_mode_32 3
		.amdhsa_float_denorm_mode_16_64 3
		.amdhsa_dx10_clamp 1
		.amdhsa_ieee_mode 1
		.amdhsa_fp16_overflow 0
		.amdhsa_exception_fp_ieee_invalid_op 0
		.amdhsa_exception_fp_denorm_src 0
		.amdhsa_exception_fp_ieee_div_zero 0
		.amdhsa_exception_fp_ieee_overflow 0
		.amdhsa_exception_fp_ieee_underflow 0
		.amdhsa_exception_fp_ieee_inexact 0
		.amdhsa_exception_int_div_zero 0
	.end_amdhsa_kernel
	.section	.text._ZL26rocblas_haxpy_mod_8_kernelILi256EfPKfPfEviT0_lT1_llT2_lli,"axG",@progbits,_ZL26rocblas_haxpy_mod_8_kernelILi256EfPKfPfEviT0_lT1_llT2_lli,comdat
.Lfunc_end9:
	.size	_ZL26rocblas_haxpy_mod_8_kernelILi256EfPKfPfEviT0_lT1_llT2_lli, .Lfunc_end9-_ZL26rocblas_haxpy_mod_8_kernelILi256EfPKfPfEviT0_lT1_llT2_lli
                                        ; -- End function
	.set _ZL26rocblas_haxpy_mod_8_kernelILi256EfPKfPfEviT0_lT1_llT2_lli.num_vgpr, 6
	.set _ZL26rocblas_haxpy_mod_8_kernelILi256EfPKfPfEviT0_lT1_llT2_lli.num_agpr, 0
	.set _ZL26rocblas_haxpy_mod_8_kernelILi256EfPKfPfEviT0_lT1_llT2_lli.numbered_sgpr, 20
	.set _ZL26rocblas_haxpy_mod_8_kernelILi256EfPKfPfEviT0_lT1_llT2_lli.num_named_barrier, 0
	.set _ZL26rocblas_haxpy_mod_8_kernelILi256EfPKfPfEviT0_lT1_llT2_lli.private_seg_size, 0
	.set _ZL26rocblas_haxpy_mod_8_kernelILi256EfPKfPfEviT0_lT1_llT2_lli.uses_vcc, 1
	.set _ZL26rocblas_haxpy_mod_8_kernelILi256EfPKfPfEviT0_lT1_llT2_lli.uses_flat_scratch, 0
	.set _ZL26rocblas_haxpy_mod_8_kernelILi256EfPKfPfEviT0_lT1_llT2_lli.has_dyn_sized_stack, 0
	.set _ZL26rocblas_haxpy_mod_8_kernelILi256EfPKfPfEviT0_lT1_llT2_lli.has_recursion, 0
	.set _ZL26rocblas_haxpy_mod_8_kernelILi256EfPKfPfEviT0_lT1_llT2_lli.has_indirect_call, 0
	.section	.AMDGPU.csdata,"",@progbits
; Kernel info:
; codeLenInByte = 224
; TotalNumSgprs: 24
; NumVgprs: 6
; ScratchSize: 0
; MemoryBound: 0
; FloatMode: 240
; IeeeMode: 1
; LDSByteSize: 0 bytes/workgroup (compile time only)
; SGPRBlocks: 2
; VGPRBlocks: 1
; NumSGPRsForWavesPerEU: 24
; NumVGPRsForWavesPerEU: 6
; Occupancy: 10
; WaveLimiterHint : 0
; COMPUTE_PGM_RSRC2:SCRATCH_EN: 0
; COMPUTE_PGM_RSRC2:USER_SGPR: 6
; COMPUTE_PGM_RSRC2:TRAP_HANDLER: 0
; COMPUTE_PGM_RSRC2:TGID_X_EN: 1
; COMPUTE_PGM_RSRC2:TGID_Y_EN: 0
; COMPUTE_PGM_RSRC2:TGID_Z_EN: 1
; COMPUTE_PGM_RSRC2:TIDIG_COMP_CNT: 0
	.section	.text._ZL22rocblas_saxpy_2_kernelILi256EfPKfS1_PfEviT1_lT2_llT3_lli,"axG",@progbits,_ZL22rocblas_saxpy_2_kernelILi256EfPKfS1_PfEviT1_lT2_llT3_lli,comdat
	.globl	_ZL22rocblas_saxpy_2_kernelILi256EfPKfS1_PfEviT1_lT2_llT3_lli ; -- Begin function _ZL22rocblas_saxpy_2_kernelILi256EfPKfS1_PfEviT1_lT2_llT3_lli
	.p2align	8
	.type	_ZL22rocblas_saxpy_2_kernelILi256EfPKfS1_PfEviT1_lT2_llT3_lli,@function
_ZL22rocblas_saxpy_2_kernelILi256EfPKfS1_PfEviT1_lT2_llT3_lli: ; @_ZL22rocblas_saxpy_2_kernelILi256EfPKfS1_PfEviT1_lT2_llT3_lli
; %bb.0:
	s_load_dwordx4 s[0:3], s[4:5], 0x8
	s_waitcnt lgkmcnt(0)
	s_mul_i32 s3, s3, s7
	s_mul_hi_u32 s8, s2, s7
	s_add_i32 s3, s8, s3
	s_mul_i32 s2, s2, s7
	s_lshl_b64 s[2:3], s[2:3], 2
	s_add_u32 s0, s0, s2
	s_addc_u32 s1, s1, s3
	s_load_dword s8, s[0:1], 0x0
	s_waitcnt lgkmcnt(0)
	v_cmp_eq_f32_e64 s[0:1], s8, 0
	s_and_b64 vcc, exec, s[0:1]
	s_cbranch_vccnz .LBB10_5
; %bb.1:
	s_load_dwordx2 s[10:11], s[4:5], 0x18
	s_load_dword s9, s[4:5], 0x0
	s_load_dwordx2 s[16:17], s[4:5], 0x30
	s_load_dwordx4 s[0:3], s[4:5], 0x20
	s_load_dwordx4 s[12:15], s[4:5], 0x38
	v_lshlrev_b32_e32 v0, 1, v0
	v_lshl_or_b32 v0, s6, 9, v0
	v_mov_b32_e32 v1, 0
	s_waitcnt lgkmcnt(0)
	s_mul_i32 s3, s3, s7
	s_mul_hi_u32 s4, s2, s7
	s_add_i32 s3, s4, s3
	s_mul_i32 s2, s2, s7
	s_lshl_b64 s[2:3], s[2:3], 2
	s_add_u32 s2, s10, s2
	s_addc_u32 s3, s11, s3
	s_lshl_b64 s[0:1], s[0:1], 2
	s_add_u32 s4, s2, s0
	s_addc_u32 s5, s3, s1
	s_mul_i32 s0, s15, s7
	s_mul_hi_u32 s1, s14, s7
	s_add_i32 s1, s1, s0
	s_mul_i32 s0, s14, s7
	s_lshl_b64 s[0:1], s[0:1], 2
	s_add_u32 s2, s16, s0
	s_addc_u32 s3, s17, s1
	s_lshl_b64 s[0:1], s[12:13], 2
	s_add_u32 s6, s2, s0
	s_addc_u32 s7, s3, s1
	s_add_i32 s0, s9, -1
	s_ashr_i32 s1, s0, 31
	v_cmp_gt_i64_e32 vcc, s[0:1], v[0:1]
	v_lshlrev_b64 v[2:3], 2, v[0:1]
	s_and_saveexec_b64 s[2:3], vcc
	s_cbranch_execz .LBB10_3
; %bb.2:
	v_mov_b32_e32 v5, s7
	v_add_co_u32_e32 v4, vcc, s6, v2
	v_addc_co_u32_e32 v5, vcc, v5, v3, vcc
	v_mov_b32_e32 v9, s5
	v_add_co_u32_e32 v8, vcc, s4, v2
	v_addc_co_u32_e32 v9, vcc, v9, v3, vcc
	global_load_dwordx2 v[6:7], v[4:5], off
	s_nop 0
	global_load_dwordx2 v[8:9], v[8:9], off
	s_waitcnt vmcnt(0)
	v_fma_f32 v6, s8, v8, v6
	v_fmac_f32_e32 v7, s8, v9
	global_store_dwordx2 v[4:5], v[6:7], off
.LBB10_3:
	s_or_b64 exec, exec, s[2:3]
	s_bitcmp1_b32 s9, 0
	v_cmp_eq_u64_e32 vcc, s[0:1], v[0:1]
	s_cselect_b64 s[0:1], -1, 0
	s_and_b64 s[0:1], s[0:1], vcc
	s_and_saveexec_b64 s[2:3], s[0:1]
	s_cbranch_execz .LBB10_5
; %bb.4:
	v_mov_b32_e32 v1, s7
	v_add_co_u32_e32 v0, vcc, s6, v2
	v_addc_co_u32_e32 v1, vcc, v1, v3, vcc
	v_mov_b32_e32 v5, s5
	v_add_co_u32_e32 v2, vcc, s4, v2
	v_addc_co_u32_e32 v3, vcc, v5, v3, vcc
	global_load_dword v4, v[0:1], off
	s_nop 0
	global_load_dword v2, v[2:3], off
	s_waitcnt vmcnt(0)
	v_fmac_f32_e32 v4, s8, v2
	global_store_dword v[0:1], v4, off
.LBB10_5:
	s_endpgm
	.section	.rodata,"a",@progbits
	.p2align	6, 0x0
	.amdhsa_kernel _ZL22rocblas_saxpy_2_kernelILi256EfPKfS1_PfEviT1_lT2_llT3_lli
		.amdhsa_group_segment_fixed_size 0
		.amdhsa_private_segment_fixed_size 0
		.amdhsa_kernarg_size 76
		.amdhsa_user_sgpr_count 6
		.amdhsa_user_sgpr_private_segment_buffer 1
		.amdhsa_user_sgpr_dispatch_ptr 0
		.amdhsa_user_sgpr_queue_ptr 0
		.amdhsa_user_sgpr_kernarg_segment_ptr 1
		.amdhsa_user_sgpr_dispatch_id 0
		.amdhsa_user_sgpr_flat_scratch_init 0
		.amdhsa_user_sgpr_private_segment_size 0
		.amdhsa_uses_dynamic_stack 0
		.amdhsa_system_sgpr_private_segment_wavefront_offset 0
		.amdhsa_system_sgpr_workgroup_id_x 1
		.amdhsa_system_sgpr_workgroup_id_y 0
		.amdhsa_system_sgpr_workgroup_id_z 1
		.amdhsa_system_sgpr_workgroup_info 0
		.amdhsa_system_vgpr_workitem_id 0
		.amdhsa_next_free_vgpr 10
		.amdhsa_next_free_sgpr 18
		.amdhsa_reserve_vcc 1
		.amdhsa_reserve_flat_scratch 0
		.amdhsa_float_round_mode_32 0
		.amdhsa_float_round_mode_16_64 0
		.amdhsa_float_denorm_mode_32 3
		.amdhsa_float_denorm_mode_16_64 3
		.amdhsa_dx10_clamp 1
		.amdhsa_ieee_mode 1
		.amdhsa_fp16_overflow 0
		.amdhsa_exception_fp_ieee_invalid_op 0
		.amdhsa_exception_fp_denorm_src 0
		.amdhsa_exception_fp_ieee_div_zero 0
		.amdhsa_exception_fp_ieee_overflow 0
		.amdhsa_exception_fp_ieee_underflow 0
		.amdhsa_exception_fp_ieee_inexact 0
		.amdhsa_exception_int_div_zero 0
	.end_amdhsa_kernel
	.section	.text._ZL22rocblas_saxpy_2_kernelILi256EfPKfS1_PfEviT1_lT2_llT3_lli,"axG",@progbits,_ZL22rocblas_saxpy_2_kernelILi256EfPKfS1_PfEviT1_lT2_llT3_lli,comdat
.Lfunc_end10:
	.size	_ZL22rocblas_saxpy_2_kernelILi256EfPKfS1_PfEviT1_lT2_llT3_lli, .Lfunc_end10-_ZL22rocblas_saxpy_2_kernelILi256EfPKfS1_PfEviT1_lT2_llT3_lli
                                        ; -- End function
	.set _ZL22rocblas_saxpy_2_kernelILi256EfPKfS1_PfEviT1_lT2_llT3_lli.num_vgpr, 10
	.set _ZL22rocblas_saxpy_2_kernelILi256EfPKfS1_PfEviT1_lT2_llT3_lli.num_agpr, 0
	.set _ZL22rocblas_saxpy_2_kernelILi256EfPKfS1_PfEviT1_lT2_llT3_lli.numbered_sgpr, 18
	.set _ZL22rocblas_saxpy_2_kernelILi256EfPKfS1_PfEviT1_lT2_llT3_lli.num_named_barrier, 0
	.set _ZL22rocblas_saxpy_2_kernelILi256EfPKfS1_PfEviT1_lT2_llT3_lli.private_seg_size, 0
	.set _ZL22rocblas_saxpy_2_kernelILi256EfPKfS1_PfEviT1_lT2_llT3_lli.uses_vcc, 1
	.set _ZL22rocblas_saxpy_2_kernelILi256EfPKfS1_PfEviT1_lT2_llT3_lli.uses_flat_scratch, 0
	.set _ZL22rocblas_saxpy_2_kernelILi256EfPKfS1_PfEviT1_lT2_llT3_lli.has_dyn_sized_stack, 0
	.set _ZL22rocblas_saxpy_2_kernelILi256EfPKfS1_PfEviT1_lT2_llT3_lli.has_recursion, 0
	.set _ZL22rocblas_saxpy_2_kernelILi256EfPKfS1_PfEviT1_lT2_llT3_lli.has_indirect_call, 0
	.section	.AMDGPU.csdata,"",@progbits
; Kernel info:
; codeLenInByte = 396
; TotalNumSgprs: 22
; NumVgprs: 10
; ScratchSize: 0
; MemoryBound: 0
; FloatMode: 240
; IeeeMode: 1
; LDSByteSize: 0 bytes/workgroup (compile time only)
; SGPRBlocks: 2
; VGPRBlocks: 2
; NumSGPRsForWavesPerEU: 22
; NumVGPRsForWavesPerEU: 10
; Occupancy: 10
; WaveLimiterHint : 0
; COMPUTE_PGM_RSRC2:SCRATCH_EN: 0
; COMPUTE_PGM_RSRC2:USER_SGPR: 6
; COMPUTE_PGM_RSRC2:TRAP_HANDLER: 0
; COMPUTE_PGM_RSRC2:TGID_X_EN: 1
; COMPUTE_PGM_RSRC2:TGID_Y_EN: 0
; COMPUTE_PGM_RSRC2:TGID_Z_EN: 1
; COMPUTE_PGM_RSRC2:TIDIG_COMP_CNT: 0
	.section	.text._ZL22rocblas_saxpy_2_kernelILi256EffPKfPfEviT1_lT2_llT3_lli,"axG",@progbits,_ZL22rocblas_saxpy_2_kernelILi256EffPKfPfEviT1_lT2_llT3_lli,comdat
	.globl	_ZL22rocblas_saxpy_2_kernelILi256EffPKfPfEviT1_lT2_llT3_lli ; -- Begin function _ZL22rocblas_saxpy_2_kernelILi256EffPKfPfEviT1_lT2_llT3_lli
	.p2align	8
	.type	_ZL22rocblas_saxpy_2_kernelILi256EffPKfPfEviT1_lT2_llT3_lli,@function
_ZL22rocblas_saxpy_2_kernelILi256EffPKfPfEviT1_lT2_llT3_lli: ; @_ZL22rocblas_saxpy_2_kernelILi256EffPKfPfEviT1_lT2_llT3_lli
; %bb.0:
	s_load_dwordx2 s[0:1], s[4:5], 0x0
	s_waitcnt lgkmcnt(0)
	v_cmp_eq_f32_e64 s[2:3], s1, 0
	s_and_b64 vcc, exec, s[2:3]
	s_cbranch_vccnz .LBB11_5
; %bb.1:
	s_load_dwordx2 s[2:3], s[4:5], 0x10
	s_load_dwordx4 s[8:11], s[4:5], 0x18
	s_load_dwordx2 s[16:17], s[4:5], 0x28
	s_load_dwordx4 s[12:15], s[4:5], 0x30
	v_lshlrev_b32_e32 v0, 1, v0
	v_lshl_or_b32 v0, s6, 9, v0
	s_waitcnt lgkmcnt(0)
	s_mul_i32 s4, s11, s7
	s_mul_hi_u32 s5, s10, s7
	s_add_i32 s5, s5, s4
	s_mul_i32 s4, s10, s7
	s_lshl_b64 s[4:5], s[4:5], 2
	s_add_u32 s4, s2, s4
	s_addc_u32 s5, s3, s5
	s_lshl_b64 s[2:3], s[8:9], 2
	s_add_u32 s6, s4, s2
	s_addc_u32 s8, s5, s3
	s_mul_i32 s2, s15, s7
	s_mul_hi_u32 s3, s14, s7
	s_add_i32 s3, s3, s2
	s_mul_i32 s2, s14, s7
	s_lshl_b64 s[2:3], s[2:3], 2
	s_add_u32 s4, s16, s2
	s_addc_u32 s5, s17, s3
	s_lshl_b64 s[2:3], s[12:13], 2
	s_add_u32 s7, s4, s2
	s_addc_u32 s9, s5, s3
	s_add_i32 s2, s0, -1
	v_mov_b32_e32 v1, 0
	s_ashr_i32 s3, s2, 31
	v_cmp_gt_i64_e32 vcc, s[2:3], v[0:1]
	v_lshlrev_b64 v[2:3], 2, v[0:1]
	s_and_saveexec_b64 s[4:5], vcc
	s_cbranch_execz .LBB11_3
; %bb.2:
	v_mov_b32_e32 v5, s9
	v_add_co_u32_e32 v4, vcc, s7, v2
	v_addc_co_u32_e32 v5, vcc, v5, v3, vcc
	v_mov_b32_e32 v9, s8
	v_add_co_u32_e32 v8, vcc, s6, v2
	v_addc_co_u32_e32 v9, vcc, v9, v3, vcc
	global_load_dwordx2 v[6:7], v[4:5], off
	s_nop 0
	global_load_dwordx2 v[8:9], v[8:9], off
	s_waitcnt vmcnt(0)
	v_fma_f32 v6, s1, v8, v6
	v_fmac_f32_e32 v7, s1, v9
	global_store_dwordx2 v[4:5], v[6:7], off
.LBB11_3:
	s_or_b64 exec, exec, s[4:5]
	s_bitcmp1_b32 s0, 0
	v_cmp_eq_u64_e32 vcc, s[2:3], v[0:1]
	s_cselect_b64 s[2:3], -1, 0
	s_and_b64 s[2:3], s[2:3], vcc
	s_and_saveexec_b64 s[4:5], s[2:3]
	s_cbranch_execz .LBB11_5
; %bb.4:
	v_mov_b32_e32 v1, s9
	v_add_co_u32_e32 v0, vcc, s7, v2
	v_addc_co_u32_e32 v1, vcc, v1, v3, vcc
	v_mov_b32_e32 v5, s8
	v_add_co_u32_e32 v2, vcc, s6, v2
	v_addc_co_u32_e32 v3, vcc, v5, v3, vcc
	global_load_dword v4, v[0:1], off
	s_nop 0
	global_load_dword v2, v[2:3], off
	s_waitcnt vmcnt(0)
	v_fmac_f32_e32 v4, s1, v2
	global_store_dword v[0:1], v4, off
.LBB11_5:
	s_endpgm
	.section	.rodata,"a",@progbits
	.p2align	6, 0x0
	.amdhsa_kernel _ZL22rocblas_saxpy_2_kernelILi256EffPKfPfEviT1_lT2_llT3_lli
		.amdhsa_group_segment_fixed_size 0
		.amdhsa_private_segment_fixed_size 0
		.amdhsa_kernarg_size 68
		.amdhsa_user_sgpr_count 6
		.amdhsa_user_sgpr_private_segment_buffer 1
		.amdhsa_user_sgpr_dispatch_ptr 0
		.amdhsa_user_sgpr_queue_ptr 0
		.amdhsa_user_sgpr_kernarg_segment_ptr 1
		.amdhsa_user_sgpr_dispatch_id 0
		.amdhsa_user_sgpr_flat_scratch_init 0
		.amdhsa_user_sgpr_private_segment_size 0
		.amdhsa_uses_dynamic_stack 0
		.amdhsa_system_sgpr_private_segment_wavefront_offset 0
		.amdhsa_system_sgpr_workgroup_id_x 1
		.amdhsa_system_sgpr_workgroup_id_y 0
		.amdhsa_system_sgpr_workgroup_id_z 1
		.amdhsa_system_sgpr_workgroup_info 0
		.amdhsa_system_vgpr_workitem_id 0
		.amdhsa_next_free_vgpr 10
		.amdhsa_next_free_sgpr 18
		.amdhsa_reserve_vcc 1
		.amdhsa_reserve_flat_scratch 0
		.amdhsa_float_round_mode_32 0
		.amdhsa_float_round_mode_16_64 0
		.amdhsa_float_denorm_mode_32 3
		.amdhsa_float_denorm_mode_16_64 3
		.amdhsa_dx10_clamp 1
		.amdhsa_ieee_mode 1
		.amdhsa_fp16_overflow 0
		.amdhsa_exception_fp_ieee_invalid_op 0
		.amdhsa_exception_fp_denorm_src 0
		.amdhsa_exception_fp_ieee_div_zero 0
		.amdhsa_exception_fp_ieee_overflow 0
		.amdhsa_exception_fp_ieee_underflow 0
		.amdhsa_exception_fp_ieee_inexact 0
		.amdhsa_exception_int_div_zero 0
	.end_amdhsa_kernel
	.section	.text._ZL22rocblas_saxpy_2_kernelILi256EffPKfPfEviT1_lT2_llT3_lli,"axG",@progbits,_ZL22rocblas_saxpy_2_kernelILi256EffPKfPfEviT1_lT2_llT3_lli,comdat
.Lfunc_end11:
	.size	_ZL22rocblas_saxpy_2_kernelILi256EffPKfPfEviT1_lT2_llT3_lli, .Lfunc_end11-_ZL22rocblas_saxpy_2_kernelILi256EffPKfPfEviT1_lT2_llT3_lli
                                        ; -- End function
	.set _ZL22rocblas_saxpy_2_kernelILi256EffPKfPfEviT1_lT2_llT3_lli.num_vgpr, 10
	.set _ZL22rocblas_saxpy_2_kernelILi256EffPKfPfEviT1_lT2_llT3_lli.num_agpr, 0
	.set _ZL22rocblas_saxpy_2_kernelILi256EffPKfPfEviT1_lT2_llT3_lli.numbered_sgpr, 18
	.set _ZL22rocblas_saxpy_2_kernelILi256EffPKfPfEviT1_lT2_llT3_lli.num_named_barrier, 0
	.set _ZL22rocblas_saxpy_2_kernelILi256EffPKfPfEviT1_lT2_llT3_lli.private_seg_size, 0
	.set _ZL22rocblas_saxpy_2_kernelILi256EffPKfPfEviT1_lT2_llT3_lli.uses_vcc, 1
	.set _ZL22rocblas_saxpy_2_kernelILi256EffPKfPfEviT1_lT2_llT3_lli.uses_flat_scratch, 0
	.set _ZL22rocblas_saxpy_2_kernelILi256EffPKfPfEviT1_lT2_llT3_lli.has_dyn_sized_stack, 0
	.set _ZL22rocblas_saxpy_2_kernelILi256EffPKfPfEviT1_lT2_llT3_lli.has_recursion, 0
	.set _ZL22rocblas_saxpy_2_kernelILi256EffPKfPfEviT1_lT2_llT3_lli.has_indirect_call, 0
	.section	.AMDGPU.csdata,"",@progbits
; Kernel info:
; codeLenInByte = 348
; TotalNumSgprs: 22
; NumVgprs: 10
; ScratchSize: 0
; MemoryBound: 0
; FloatMode: 240
; IeeeMode: 1
; LDSByteSize: 0 bytes/workgroup (compile time only)
; SGPRBlocks: 2
; VGPRBlocks: 2
; NumSGPRsForWavesPerEU: 22
; NumVGPRsForWavesPerEU: 10
; Occupancy: 10
; WaveLimiterHint : 0
; COMPUTE_PGM_RSRC2:SCRATCH_EN: 0
; COMPUTE_PGM_RSRC2:USER_SGPR: 6
; COMPUTE_PGM_RSRC2:TRAP_HANDLER: 0
; COMPUTE_PGM_RSRC2:TGID_X_EN: 1
; COMPUTE_PGM_RSRC2:TGID_Y_EN: 0
; COMPUTE_PGM_RSRC2:TGID_Z_EN: 1
; COMPUTE_PGM_RSRC2:TIDIG_COMP_CNT: 0
	.section	.text._ZL27rocblas_axpy_kernel_batchedIiLi128ELi8EfPKfS1_PfEviT3_lT4_lT_lT5_lS5_li,"axG",@progbits,_ZL27rocblas_axpy_kernel_batchedIiLi128ELi8EfPKfS1_PfEviT3_lT4_lT_lT5_lS5_li,comdat
	.globl	_ZL27rocblas_axpy_kernel_batchedIiLi128ELi8EfPKfS1_PfEviT3_lT4_lT_lT5_lS5_li ; -- Begin function _ZL27rocblas_axpy_kernel_batchedIiLi128ELi8EfPKfS1_PfEviT3_lT4_lT_lT5_lS5_li
	.p2align	8
	.type	_ZL27rocblas_axpy_kernel_batchedIiLi128ELi8EfPKfS1_PfEviT3_lT4_lT_lT5_lS5_li,@function
_ZL27rocblas_axpy_kernel_batchedIiLi128ELi8EfPKfS1_PfEviT3_lT4_lT_lT5_lS5_li: ; @_ZL27rocblas_axpy_kernel_batchedIiLi128ELi8EfPKfS1_PfEviT3_lT4_lT_lT5_lS5_li
; %bb.0:
	s_load_dword s0, s[4:5], 0x0
	v_lshl_add_u32 v2, s6, 7, v0
	v_mov_b32_e32 v3, 0
	s_waitcnt lgkmcnt(0)
	s_ashr_i32 s1, s0, 31
	v_cmp_gt_i64_e32 vcc, s[0:1], v[2:3]
	s_and_saveexec_b64 s[0:1], vcc
	s_cbranch_execz .LBB12_13
; %bb.1:
	s_load_dword s20, s[4:5], 0x28
	s_load_dwordx8 s[8:15], s[4:5], 0x8
	s_load_dwordx4 s[0:3], s[4:5], 0x30
	s_load_dwordx2 s[18:19], s[4:5], 0x40
	s_load_dword s22, s[4:5], 0x48
	s_load_dwordx2 s[16:17], s[4:5], 0x50
	s_load_dword s6, s[4:5], 0x58
	s_waitcnt lgkmcnt(0)
	v_mad_u64_u32 v[5:6], s[4:5], s20, v2, 0
	v_mad_u64_u32 v[7:8], s[4:5], s22, v2, 0
	s_ashr_i32 s21, s20, 31
	v_mov_b32_e32 v0, v6
	v_mad_u64_u32 v[3:4], s[4:5], s21, v2, v[0:1]
	s_ashr_i32 s20, s22, 31
	v_mov_b32_e32 v0, v8
	v_mad_u64_u32 v[8:9], s[4:5], s20, v2, v[0:1]
	v_lshlrev_b32_e32 v0, 2, v1
	v_mov_b32_e32 v6, v3
	s_lshl_b64 s[4:5], s[14:15], 2
	v_lshl_add_u32 v4, s7, 5, v0
	s_add_u32 s4, s12, s4
	v_lshlrev_b64 v[0:1], 2, v[5:6]
	s_addc_u32 s5, s13, s5
	v_mov_b32_e32 v2, s5
	v_add_co_u32_e32 v0, vcc, s4, v0
	s_lshl_b64 s[4:5], s[18:19], 2
	v_addc_co_u32_e32 v1, vcc, v2, v1, vcc
	s_add_u32 s2, s2, s4
	v_lshlrev_b64 v[2:3], 2, v[7:8]
	s_addc_u32 s3, s3, s5
	v_mov_b32_e32 v5, s3
	v_add_co_u32_e32 v2, vcc, s2, v2
	v_addc_co_u32_e32 v3, vcc, v5, v3, vcc
	v_cmp_gt_u32_e32 vcc, s6, v4
	s_and_saveexec_b64 s[2:3], vcc
	s_cbranch_execz .LBB12_4
; %bb.2:
	v_mad_u64_u32 v[5:6], s[4:5], s10, v4, 0
	v_mad_u64_u32 v[6:7], s[4:5], s11, v4, v[6:7]
	v_mov_b32_e32 v7, s9
	v_lshlrev_b64 v[5:6], 2, v[5:6]
	v_add_co_u32_e32 v5, vcc, s8, v5
	v_addc_co_u32_e32 v6, vcc, v7, v6, vcc
	global_load_dword v5, v[5:6], off
	s_waitcnt vmcnt(0)
	v_cmp_neq_f32_e32 vcc, 0, v5
	s_and_b64 exec, exec, vcc
	s_cbranch_execz .LBB12_4
; %bb.3:
	v_mad_u64_u32 v[6:7], s[4:5], s0, v4, 0
	v_mad_u64_u32 v[8:9], s[4:5], s16, v4, 0
	v_mad_u64_u32 v[10:11], s[4:5], s1, v4, v[7:8]
	v_mov_b32_e32 v7, v10
	v_mad_u64_u32 v[9:10], s[4:5], s17, v4, v[9:10]
	v_lshlrev_b64 v[6:7], 2, v[6:7]
	v_add_co_u32_e32 v6, vcc, v0, v6
	v_lshlrev_b64 v[8:9], 2, v[8:9]
	v_addc_co_u32_e32 v7, vcc, v1, v7, vcc
	v_add_co_u32_e32 v8, vcc, v2, v8
	v_addc_co_u32_e32 v9, vcc, v3, v9, vcc
	global_load_dword v10, v[8:9], off
	global_load_dword v11, v[6:7], off
	s_waitcnt vmcnt(0)
	v_fmac_f32_e32 v10, v5, v11
	global_store_dword v[8:9], v10, off
.LBB12_4:
	s_or_b64 exec, exec, s[2:3]
	v_or_b32_e32 v5, 1, v4
	v_cmp_gt_u32_e32 vcc, s6, v5
	s_and_saveexec_b64 s[2:3], vcc
	s_cbranch_execz .LBB12_7
; %bb.5:
	v_mad_u64_u32 v[6:7], s[4:5], s10, v5, 0
	v_mad_u64_u32 v[7:8], s[4:5], s11, v5, v[7:8]
	v_mov_b32_e32 v8, s9
	v_lshlrev_b64 v[6:7], 2, v[6:7]
	v_add_co_u32_e32 v6, vcc, s8, v6
	v_addc_co_u32_e32 v7, vcc, v8, v7, vcc
	global_load_dword v6, v[6:7], off
	s_waitcnt vmcnt(0)
	v_cmp_neq_f32_e32 vcc, 0, v6
	s_and_b64 exec, exec, vcc
	s_cbranch_execz .LBB12_7
; %bb.6:
	v_mad_u64_u32 v[7:8], s[4:5], s0, v5, 0
	v_mad_u64_u32 v[9:10], s[4:5], s16, v5, 0
	v_mad_u64_u32 v[11:12], s[4:5], s1, v5, v[8:9]
	v_mov_b32_e32 v8, v11
	v_mad_u64_u32 v[10:11], s[4:5], s17, v5, v[10:11]
	v_lshlrev_b64 v[7:8], 2, v[7:8]
	v_add_co_u32_e32 v7, vcc, v0, v7
	v_lshlrev_b64 v[9:10], 2, v[9:10]
	v_addc_co_u32_e32 v8, vcc, v1, v8, vcc
	v_add_co_u32_e32 v9, vcc, v2, v9
	v_addc_co_u32_e32 v10, vcc, v3, v10, vcc
	global_load_dword v5, v[9:10], off
	global_load_dword v11, v[7:8], off
	s_waitcnt vmcnt(0)
	v_fmac_f32_e32 v5, v6, v11
	global_store_dword v[9:10], v5, off
.LBB12_7:
	s_or_b64 exec, exec, s[2:3]
	v_or_b32_e32 v5, 2, v4
	;; [unrolled: 35-line block ×3, first 2 shown]
	v_cmp_gt_u32_e32 vcc, s6, v4
	s_and_b64 exec, exec, vcc
	s_cbranch_execz .LBB12_13
; %bb.11:
	v_mad_u64_u32 v[5:6], s[2:3], s10, v4, 0
	v_mad_u64_u32 v[6:7], s[2:3], s11, v4, v[6:7]
	v_mov_b32_e32 v7, s9
	v_lshlrev_b64 v[5:6], 2, v[5:6]
	v_add_co_u32_e32 v5, vcc, s8, v5
	v_addc_co_u32_e32 v6, vcc, v7, v6, vcc
	global_load_dword v5, v[5:6], off
	s_waitcnt vmcnt(0)
	v_cmp_neq_f32_e32 vcc, 0, v5
	s_and_b64 exec, exec, vcc
	s_cbranch_execz .LBB12_13
; %bb.12:
	v_mad_u64_u32 v[6:7], s[2:3], s0, v4, 0
	v_mad_u64_u32 v[8:9], s[2:3], s16, v4, 0
	;; [unrolled: 1-line block ×3, first 2 shown]
	v_mov_b32_e32 v7, v10
	v_mad_u64_u32 v[9:10], s[0:1], s17, v4, v[9:10]
	v_lshlrev_b64 v[6:7], 2, v[6:7]
	v_add_co_u32_e32 v0, vcc, v0, v6
	v_addc_co_u32_e32 v1, vcc, v1, v7, vcc
	v_lshlrev_b64 v[6:7], 2, v[8:9]
	v_add_co_u32_e32 v2, vcc, v2, v6
	v_addc_co_u32_e32 v3, vcc, v3, v7, vcc
	global_load_dword v4, v[2:3], off
	global_load_dword v6, v[0:1], off
	s_waitcnt vmcnt(0)
	v_fmac_f32_e32 v4, v5, v6
	global_store_dword v[2:3], v4, off
.LBB12_13:
	s_endpgm
	.section	.rodata,"a",@progbits
	.p2align	6, 0x0
	.amdhsa_kernel _ZL27rocblas_axpy_kernel_batchedIiLi128ELi8EfPKfS1_PfEviT3_lT4_lT_lT5_lS5_li
		.amdhsa_group_segment_fixed_size 0
		.amdhsa_private_segment_fixed_size 0
		.amdhsa_kernarg_size 92
		.amdhsa_user_sgpr_count 6
		.amdhsa_user_sgpr_private_segment_buffer 1
		.amdhsa_user_sgpr_dispatch_ptr 0
		.amdhsa_user_sgpr_queue_ptr 0
		.amdhsa_user_sgpr_kernarg_segment_ptr 1
		.amdhsa_user_sgpr_dispatch_id 0
		.amdhsa_user_sgpr_flat_scratch_init 0
		.amdhsa_user_sgpr_private_segment_size 0
		.amdhsa_uses_dynamic_stack 0
		.amdhsa_system_sgpr_private_segment_wavefront_offset 0
		.amdhsa_system_sgpr_workgroup_id_x 1
		.amdhsa_system_sgpr_workgroup_id_y 0
		.amdhsa_system_sgpr_workgroup_id_z 1
		.amdhsa_system_sgpr_workgroup_info 0
		.amdhsa_system_vgpr_workitem_id 1
		.amdhsa_next_free_vgpr 13
		.amdhsa_next_free_sgpr 23
		.amdhsa_reserve_vcc 1
		.amdhsa_reserve_flat_scratch 0
		.amdhsa_float_round_mode_32 0
		.amdhsa_float_round_mode_16_64 0
		.amdhsa_float_denorm_mode_32 3
		.amdhsa_float_denorm_mode_16_64 3
		.amdhsa_dx10_clamp 1
		.amdhsa_ieee_mode 1
		.amdhsa_fp16_overflow 0
		.amdhsa_exception_fp_ieee_invalid_op 0
		.amdhsa_exception_fp_denorm_src 0
		.amdhsa_exception_fp_ieee_div_zero 0
		.amdhsa_exception_fp_ieee_overflow 0
		.amdhsa_exception_fp_ieee_underflow 0
		.amdhsa_exception_fp_ieee_inexact 0
		.amdhsa_exception_int_div_zero 0
	.end_amdhsa_kernel
	.section	.text._ZL27rocblas_axpy_kernel_batchedIiLi128ELi8EfPKfS1_PfEviT3_lT4_lT_lT5_lS5_li,"axG",@progbits,_ZL27rocblas_axpy_kernel_batchedIiLi128ELi8EfPKfS1_PfEviT3_lT4_lT_lT5_lS5_li,comdat
.Lfunc_end12:
	.size	_ZL27rocblas_axpy_kernel_batchedIiLi128ELi8EfPKfS1_PfEviT3_lT4_lT_lT5_lS5_li, .Lfunc_end12-_ZL27rocblas_axpy_kernel_batchedIiLi128ELi8EfPKfS1_PfEviT3_lT4_lT_lT5_lS5_li
                                        ; -- End function
	.set _ZL27rocblas_axpy_kernel_batchedIiLi128ELi8EfPKfS1_PfEviT3_lT4_lT_lT5_lS5_li.num_vgpr, 13
	.set _ZL27rocblas_axpy_kernel_batchedIiLi128ELi8EfPKfS1_PfEviT3_lT4_lT_lT5_lS5_li.num_agpr, 0
	.set _ZL27rocblas_axpy_kernel_batchedIiLi128ELi8EfPKfS1_PfEviT3_lT4_lT_lT5_lS5_li.numbered_sgpr, 23
	.set _ZL27rocblas_axpy_kernel_batchedIiLi128ELi8EfPKfS1_PfEviT3_lT4_lT_lT5_lS5_li.num_named_barrier, 0
	.set _ZL27rocblas_axpy_kernel_batchedIiLi128ELi8EfPKfS1_PfEviT3_lT4_lT_lT5_lS5_li.private_seg_size, 0
	.set _ZL27rocblas_axpy_kernel_batchedIiLi128ELi8EfPKfS1_PfEviT3_lT4_lT_lT5_lS5_li.uses_vcc, 1
	.set _ZL27rocblas_axpy_kernel_batchedIiLi128ELi8EfPKfS1_PfEviT3_lT4_lT_lT5_lS5_li.uses_flat_scratch, 0
	.set _ZL27rocblas_axpy_kernel_batchedIiLi128ELi8EfPKfS1_PfEviT3_lT4_lT_lT5_lS5_li.has_dyn_sized_stack, 0
	.set _ZL27rocblas_axpy_kernel_batchedIiLi128ELi8EfPKfS1_PfEviT3_lT4_lT_lT5_lS5_li.has_recursion, 0
	.set _ZL27rocblas_axpy_kernel_batchedIiLi128ELi8EfPKfS1_PfEviT3_lT4_lT_lT5_lS5_li.has_indirect_call, 0
	.section	.AMDGPU.csdata,"",@progbits
; Kernel info:
; codeLenInByte = 944
; TotalNumSgprs: 27
; NumVgprs: 13
; ScratchSize: 0
; MemoryBound: 0
; FloatMode: 240
; IeeeMode: 1
; LDSByteSize: 0 bytes/workgroup (compile time only)
; SGPRBlocks: 3
; VGPRBlocks: 3
; NumSGPRsForWavesPerEU: 27
; NumVGPRsForWavesPerEU: 13
; Occupancy: 10
; WaveLimiterHint : 0
; COMPUTE_PGM_RSRC2:SCRATCH_EN: 0
; COMPUTE_PGM_RSRC2:USER_SGPR: 6
; COMPUTE_PGM_RSRC2:TRAP_HANDLER: 0
; COMPUTE_PGM_RSRC2:TGID_X_EN: 1
; COMPUTE_PGM_RSRC2:TGID_Y_EN: 0
; COMPUTE_PGM_RSRC2:TGID_Z_EN: 1
; COMPUTE_PGM_RSRC2:TIDIG_COMP_CNT: 1
	.section	.text._ZL27rocblas_axpy_kernel_batchedIiLi128ELi8EffPKfPfEviT3_lT4_lT_lT5_lS5_li,"axG",@progbits,_ZL27rocblas_axpy_kernel_batchedIiLi128ELi8EffPKfPfEviT3_lT4_lT_lT5_lS5_li,comdat
	.globl	_ZL27rocblas_axpy_kernel_batchedIiLi128ELi8EffPKfPfEviT3_lT4_lT_lT5_lS5_li ; -- Begin function _ZL27rocblas_axpy_kernel_batchedIiLi128ELi8EffPKfPfEviT3_lT4_lT_lT5_lS5_li
	.p2align	8
	.type	_ZL27rocblas_axpy_kernel_batchedIiLi128ELi8EffPKfPfEviT3_lT4_lT_lT5_lS5_li,@function
_ZL27rocblas_axpy_kernel_batchedIiLi128ELi8EffPKfPfEviT3_lT4_lT_lT5_lS5_li: ; @_ZL27rocblas_axpy_kernel_batchedIiLi128ELi8EffPKfPfEviT3_lT4_lT_lT5_lS5_li
; %bb.0:
	s_load_dwordx2 s[8:9], s[4:5], 0x0
	v_lshl_add_u32 v2, s6, 7, v0
	v_mov_b32_e32 v3, 0
	s_waitcnt lgkmcnt(0)
	s_ashr_i32 s1, s8, 31
	s_mov_b32 s0, s8
	v_cmp_gt_i64_e32 vcc, s[0:1], v[2:3]
	s_and_saveexec_b64 s[0:1], vcc
	s_cbranch_execz .LBB13_9
; %bb.1:
	s_load_dword s8, s[4:5], 0x20
	s_load_dwordx4 s[12:15], s[4:5], 0x10
	s_load_dwordx4 s[0:3], s[4:5], 0x28
	s_load_dwordx2 s[16:17], s[4:5], 0x38
	s_load_dword s19, s[4:5], 0x40
	s_load_dwordx2 s[10:11], s[4:5], 0x48
	s_load_dword s6, s[4:5], 0x50
	s_waitcnt lgkmcnt(0)
	v_mad_u64_u32 v[5:6], s[4:5], s8, v2, 0
	s_ashr_i32 s18, s8, 31
	v_mad_u64_u32 v[7:8], s[4:5], s19, v2, 0
	v_mov_b32_e32 v0, v6
	v_mad_u64_u32 v[3:4], s[4:5], s18, v2, v[0:1]
	s_ashr_i32 s8, s19, 31
	v_mov_b32_e32 v0, v8
	v_mad_u64_u32 v[8:9], s[4:5], s8, v2, v[0:1]
	v_lshlrev_b32_e32 v0, 2, v1
	v_mov_b32_e32 v6, v3
	s_lshl_b64 s[14:15], s[14:15], 2
	v_lshl_add_u32 v4, s7, 5, v0
	s_add_u32 s7, s12, s14
	v_lshlrev_b64 v[0:1], 2, v[5:6]
	s_addc_u32 s8, s13, s15
	v_mov_b32_e32 v2, s8
	v_add_co_u32_e32 v0, vcc, s7, v0
	s_lshl_b64 s[12:13], s[16:17], 2
	v_addc_co_u32_e32 v1, vcc, v2, v1, vcc
	s_add_u32 s2, s2, s12
	v_lshlrev_b64 v[2:3], 2, v[7:8]
	s_addc_u32 s3, s3, s13
	v_mov_b32_e32 v5, s3
	v_add_co_u32_e32 v2, vcc, s2, v2
	v_addc_co_u32_e32 v3, vcc, v5, v3, vcc
	v_cmp_neq_f32_e64 s[4:5], s9, 0
	v_cmp_gt_u32_e32 vcc, s6, v4
	s_and_b64 s[12:13], s[4:5], vcc
	s_and_saveexec_b64 s[2:3], s[12:13]
	s_cbranch_execz .LBB13_3
; %bb.2:
	v_mad_u64_u32 v[5:6], s[12:13], s0, v4, 0
	v_mad_u64_u32 v[7:8], s[12:13], s10, v4, 0
	;; [unrolled: 1-line block ×3, first 2 shown]
	v_mov_b32_e32 v6, v9
	v_mad_u64_u32 v[8:9], s[12:13], s11, v4, v[8:9]
	v_lshlrev_b64 v[5:6], 2, v[5:6]
	v_add_co_u32_e32 v5, vcc, v0, v5
	v_lshlrev_b64 v[7:8], 2, v[7:8]
	v_addc_co_u32_e32 v6, vcc, v1, v6, vcc
	v_add_co_u32_e32 v7, vcc, v2, v7
	v_addc_co_u32_e32 v8, vcc, v3, v8, vcc
	global_load_dword v9, v[7:8], off
	global_load_dword v10, v[5:6], off
	s_waitcnt vmcnt(0)
	v_fmac_f32_e32 v9, s9, v10
	global_store_dword v[7:8], v9, off
.LBB13_3:
	s_or_b64 exec, exec, s[2:3]
	v_or_b32_e32 v5, 1, v4
	v_cmp_gt_u32_e32 vcc, s6, v5
	s_and_b64 s[12:13], s[4:5], vcc
	s_and_saveexec_b64 s[2:3], s[12:13]
	s_cbranch_execz .LBB13_5
; %bb.4:
	v_mad_u64_u32 v[6:7], s[12:13], s0, v5, 0
	v_mad_u64_u32 v[8:9], s[12:13], s10, v5, 0
	;; [unrolled: 1-line block ×3, first 2 shown]
	v_mov_b32_e32 v7, v10
	v_mad_u64_u32 v[9:10], s[12:13], s11, v5, v[9:10]
	v_lshlrev_b64 v[6:7], 2, v[6:7]
	v_add_co_u32_e32 v5, vcc, v0, v6
	v_addc_co_u32_e32 v6, vcc, v1, v7, vcc
	v_lshlrev_b64 v[7:8], 2, v[8:9]
	v_add_co_u32_e32 v7, vcc, v2, v7
	v_addc_co_u32_e32 v8, vcc, v3, v8, vcc
	global_load_dword v9, v[7:8], off
	global_load_dword v10, v[5:6], off
	s_waitcnt vmcnt(0)
	v_fmac_f32_e32 v9, s9, v10
	global_store_dword v[7:8], v9, off
.LBB13_5:
	s_or_b64 exec, exec, s[2:3]
	v_or_b32_e32 v5, 2, v4
	v_cmp_gt_u32_e32 vcc, s6, v5
	s_and_b64 s[12:13], s[4:5], vcc
	s_and_saveexec_b64 s[2:3], s[12:13]
	s_cbranch_execz .LBB13_7
; %bb.6:
	v_mad_u64_u32 v[6:7], s[12:13], s0, v5, 0
	v_mad_u64_u32 v[8:9], s[12:13], s10, v5, 0
	;; [unrolled: 1-line block ×3, first 2 shown]
	v_mov_b32_e32 v7, v10
	v_mad_u64_u32 v[9:10], s[12:13], s11, v5, v[9:10]
	v_lshlrev_b64 v[6:7], 2, v[6:7]
	v_add_co_u32_e32 v5, vcc, v0, v6
	v_addc_co_u32_e32 v6, vcc, v1, v7, vcc
	v_lshlrev_b64 v[7:8], 2, v[8:9]
	v_add_co_u32_e32 v7, vcc, v2, v7
	v_addc_co_u32_e32 v8, vcc, v3, v8, vcc
	global_load_dword v9, v[7:8], off
	global_load_dword v10, v[5:6], off
	s_waitcnt vmcnt(0)
	v_fmac_f32_e32 v9, s9, v10
	global_store_dword v[7:8], v9, off
.LBB13_7:
	s_or_b64 exec, exec, s[2:3]
	v_or_b32_e32 v4, 3, v4
	v_cmp_gt_u32_e32 vcc, s6, v4
	s_and_b64 s[2:3], s[4:5], vcc
	s_and_b64 exec, exec, s[2:3]
	s_cbranch_execz .LBB13_9
; %bb.8:
	v_mad_u64_u32 v[5:6], s[2:3], s0, v4, 0
	v_mad_u64_u32 v[7:8], s[2:3], s10, v4, 0
	;; [unrolled: 1-line block ×3, first 2 shown]
	v_mov_b32_e32 v6, v9
	v_mad_u64_u32 v[8:9], s[0:1], s11, v4, v[8:9]
	v_lshlrev_b64 v[5:6], 2, v[5:6]
	v_add_co_u32_e32 v0, vcc, v0, v5
	v_lshlrev_b64 v[4:5], 2, v[7:8]
	v_addc_co_u32_e32 v1, vcc, v1, v6, vcc
	v_add_co_u32_e32 v2, vcc, v2, v4
	v_addc_co_u32_e32 v3, vcc, v3, v5, vcc
	global_load_dword v4, v[2:3], off
	global_load_dword v5, v[0:1], off
	s_waitcnt vmcnt(0)
	v_fmac_f32_e32 v4, s9, v5
	global_store_dword v[2:3], v4, off
.LBB13_9:
	s_endpgm
	.section	.rodata,"a",@progbits
	.p2align	6, 0x0
	.amdhsa_kernel _ZL27rocblas_axpy_kernel_batchedIiLi128ELi8EffPKfPfEviT3_lT4_lT_lT5_lS5_li
		.amdhsa_group_segment_fixed_size 0
		.amdhsa_private_segment_fixed_size 0
		.amdhsa_kernarg_size 84
		.amdhsa_user_sgpr_count 6
		.amdhsa_user_sgpr_private_segment_buffer 1
		.amdhsa_user_sgpr_dispatch_ptr 0
		.amdhsa_user_sgpr_queue_ptr 0
		.amdhsa_user_sgpr_kernarg_segment_ptr 1
		.amdhsa_user_sgpr_dispatch_id 0
		.amdhsa_user_sgpr_flat_scratch_init 0
		.amdhsa_user_sgpr_private_segment_size 0
		.amdhsa_uses_dynamic_stack 0
		.amdhsa_system_sgpr_private_segment_wavefront_offset 0
		.amdhsa_system_sgpr_workgroup_id_x 1
		.amdhsa_system_sgpr_workgroup_id_y 0
		.amdhsa_system_sgpr_workgroup_id_z 1
		.amdhsa_system_sgpr_workgroup_info 0
		.amdhsa_system_vgpr_workitem_id 1
		.amdhsa_next_free_vgpr 12
		.amdhsa_next_free_sgpr 20
		.amdhsa_reserve_vcc 1
		.amdhsa_reserve_flat_scratch 0
		.amdhsa_float_round_mode_32 0
		.amdhsa_float_round_mode_16_64 0
		.amdhsa_float_denorm_mode_32 3
		.amdhsa_float_denorm_mode_16_64 3
		.amdhsa_dx10_clamp 1
		.amdhsa_ieee_mode 1
		.amdhsa_fp16_overflow 0
		.amdhsa_exception_fp_ieee_invalid_op 0
		.amdhsa_exception_fp_denorm_src 0
		.amdhsa_exception_fp_ieee_div_zero 0
		.amdhsa_exception_fp_ieee_overflow 0
		.amdhsa_exception_fp_ieee_underflow 0
		.amdhsa_exception_fp_ieee_inexact 0
		.amdhsa_exception_int_div_zero 0
	.end_amdhsa_kernel
	.section	.text._ZL27rocblas_axpy_kernel_batchedIiLi128ELi8EffPKfPfEviT3_lT4_lT_lT5_lS5_li,"axG",@progbits,_ZL27rocblas_axpy_kernel_batchedIiLi128ELi8EffPKfPfEviT3_lT4_lT_lT5_lS5_li,comdat
.Lfunc_end13:
	.size	_ZL27rocblas_axpy_kernel_batchedIiLi128ELi8EffPKfPfEviT3_lT4_lT_lT5_lS5_li, .Lfunc_end13-_ZL27rocblas_axpy_kernel_batchedIiLi128ELi8EffPKfPfEviT3_lT4_lT_lT5_lS5_li
                                        ; -- End function
	.set _ZL27rocblas_axpy_kernel_batchedIiLi128ELi8EffPKfPfEviT3_lT4_lT_lT5_lS5_li.num_vgpr, 12
	.set _ZL27rocblas_axpy_kernel_batchedIiLi128ELi8EffPKfPfEviT3_lT4_lT_lT5_lS5_li.num_agpr, 0
	.set _ZL27rocblas_axpy_kernel_batchedIiLi128ELi8EffPKfPfEviT3_lT4_lT_lT5_lS5_li.numbered_sgpr, 20
	.set _ZL27rocblas_axpy_kernel_batchedIiLi128ELi8EffPKfPfEviT3_lT4_lT_lT5_lS5_li.num_named_barrier, 0
	.set _ZL27rocblas_axpy_kernel_batchedIiLi128ELi8EffPKfPfEviT3_lT4_lT_lT5_lS5_li.private_seg_size, 0
	.set _ZL27rocblas_axpy_kernel_batchedIiLi128ELi8EffPKfPfEviT3_lT4_lT_lT5_lS5_li.uses_vcc, 1
	.set _ZL27rocblas_axpy_kernel_batchedIiLi128ELi8EffPKfPfEviT3_lT4_lT_lT5_lS5_li.uses_flat_scratch, 0
	.set _ZL27rocblas_axpy_kernel_batchedIiLi128ELi8EffPKfPfEviT3_lT4_lT_lT5_lS5_li.has_dyn_sized_stack, 0
	.set _ZL27rocblas_axpy_kernel_batchedIiLi128ELi8EffPKfPfEviT3_lT4_lT_lT5_lS5_li.has_recursion, 0
	.set _ZL27rocblas_axpy_kernel_batchedIiLi128ELi8EffPKfPfEviT3_lT4_lT_lT5_lS5_li.has_indirect_call, 0
	.section	.AMDGPU.csdata,"",@progbits
; Kernel info:
; codeLenInByte = 732
; TotalNumSgprs: 24
; NumVgprs: 12
; ScratchSize: 0
; MemoryBound: 0
; FloatMode: 240
; IeeeMode: 1
; LDSByteSize: 0 bytes/workgroup (compile time only)
; SGPRBlocks: 2
; VGPRBlocks: 2
; NumSGPRsForWavesPerEU: 24
; NumVGPRsForWavesPerEU: 12
; Occupancy: 10
; WaveLimiterHint : 0
; COMPUTE_PGM_RSRC2:SCRATCH_EN: 0
; COMPUTE_PGM_RSRC2:USER_SGPR: 6
; COMPUTE_PGM_RSRC2:TRAP_HANDLER: 0
; COMPUTE_PGM_RSRC2:TGID_X_EN: 1
; COMPUTE_PGM_RSRC2:TGID_Y_EN: 0
; COMPUTE_PGM_RSRC2:TGID_Z_EN: 1
; COMPUTE_PGM_RSRC2:TIDIG_COMP_CNT: 1
	.section	.text._ZL19rocblas_axpy_kernelIiLi256EfPKfS1_PfEviT2_lT3_lT_lT4_lS5_li,"axG",@progbits,_ZL19rocblas_axpy_kernelIiLi256EfPKfS1_PfEviT2_lT3_lT_lT4_lS5_li,comdat
	.globl	_ZL19rocblas_axpy_kernelIiLi256EfPKfS1_PfEviT2_lT3_lT_lT4_lS5_li ; -- Begin function _ZL19rocblas_axpy_kernelIiLi256EfPKfS1_PfEviT2_lT3_lT_lT4_lS5_li
	.p2align	8
	.type	_ZL19rocblas_axpy_kernelIiLi256EfPKfS1_PfEviT2_lT3_lT_lT4_lS5_li,@function
_ZL19rocblas_axpy_kernelIiLi256EfPKfS1_PfEviT2_lT3_lT_lT4_lS5_li: ; @_ZL19rocblas_axpy_kernelIiLi256EfPKfS1_PfEviT2_lT3_lT_lT4_lS5_li
; %bb.0:
	s_load_dword s10, s[4:5], 0x0
	s_load_dwordx4 s[0:3], s[4:5], 0x8
	v_lshl_or_b32 v0, s6, 8, v0
	v_mov_b32_e32 v1, 0
	s_waitcnt lgkmcnt(0)
	s_ashr_i32 s11, s10, 31
	s_mul_i32 s3, s3, s7
	s_mul_hi_u32 s8, s2, s7
	s_add_i32 s3, s8, s3
	s_mul_i32 s2, s2, s7
	s_lshl_b64 s[2:3], s[2:3], 2
	s_add_u32 s0, s0, s2
	s_addc_u32 s1, s1, s3
	s_load_dword s8, s[0:1], 0x0
	v_cmp_gt_i64_e32 vcc, s[10:11], v[0:1]
	s_waitcnt lgkmcnt(0)
	v_cmp_neq_f32_e64 s[0:1], s8, 0
	s_and_b64 s[0:1], vcc, s[0:1]
	s_and_saveexec_b64 s[2:3], s[0:1]
	s_cbranch_execz .LBB14_2
; %bb.1:
	s_load_dword s6, s[4:5], 0x28
	s_load_dwordx4 s[12:15], s[4:5], 0x18
	s_waitcnt lgkmcnt(0)
	v_mad_u64_u32 v[1:2], s[0:1], s6, v0, 0
	s_load_dwordx4 s[0:3], s[4:5], 0x30
	s_load_dwordx2 s[10:11], s[4:5], 0x40
	s_load_dword s9, s[4:5], 0x48
	s_ashr_i32 s6, s6, 31
	v_mad_u64_u32 v[2:3], s[16:17], s6, v0, v[2:3]
	s_waitcnt lgkmcnt(0)
	s_mul_i32 s1, s1, s7
	s_mul_hi_u32 s16, s0, s7
	s_add_i32 s1, s16, s1
	s_mul_i32 s0, s0, s7
	s_ashr_i32 s6, s9, 31
	s_lshl_b64 s[0:1], s[0:1], 2
	s_add_u32 s12, s12, s0
	s_addc_u32 s16, s13, s1
	s_lshl_b64 s[0:1], s[14:15], 2
	s_load_dwordx2 s[4:5], s[4:5], 0x50
	s_add_u32 s14, s12, s0
	v_mad_u64_u32 v[3:4], s[12:13], s9, v0, 0
	s_addc_u32 s0, s16, s1
	v_mov_b32_e32 v6, s0
	v_mad_u64_u32 v[4:5], s[0:1], s6, v0, v[4:5]
	s_waitcnt lgkmcnt(0)
	s_mul_i32 s0, s5, s7
	s_mul_hi_u32 s1, s4, s7
	s_add_i32 s1, s1, s0
	s_mul_i32 s0, s4, s7
	v_lshlrev_b64 v[1:2], 2, v[1:2]
	s_lshl_b64 s[0:1], s[0:1], 2
	s_add_u32 s2, s2, s0
	v_add_co_u32_e32 v0, vcc, s14, v1
	s_addc_u32 s3, s3, s1
	s_lshl_b64 s[0:1], s[10:11], 2
	v_addc_co_u32_e32 v1, vcc, v6, v2, vcc
	s_add_u32 s0, s2, s0
	v_lshlrev_b64 v[2:3], 2, v[3:4]
	s_addc_u32 s1, s3, s1
	v_mov_b32_e32 v4, s1
	v_add_co_u32_e32 v2, vcc, s0, v2
	v_addc_co_u32_e32 v3, vcc, v4, v3, vcc
	global_load_dword v4, v[2:3], off
	global_load_dword v5, v[0:1], off
	s_waitcnt vmcnt(0)
	v_fmac_f32_e32 v4, s8, v5
	global_store_dword v[2:3], v4, off
.LBB14_2:
	s_endpgm
	.section	.rodata,"a",@progbits
	.p2align	6, 0x0
	.amdhsa_kernel _ZL19rocblas_axpy_kernelIiLi256EfPKfS1_PfEviT2_lT3_lT_lT4_lS5_li
		.amdhsa_group_segment_fixed_size 0
		.amdhsa_private_segment_fixed_size 0
		.amdhsa_kernarg_size 92
		.amdhsa_user_sgpr_count 6
		.amdhsa_user_sgpr_private_segment_buffer 1
		.amdhsa_user_sgpr_dispatch_ptr 0
		.amdhsa_user_sgpr_queue_ptr 0
		.amdhsa_user_sgpr_kernarg_segment_ptr 1
		.amdhsa_user_sgpr_dispatch_id 0
		.amdhsa_user_sgpr_flat_scratch_init 0
		.amdhsa_user_sgpr_private_segment_size 0
		.amdhsa_uses_dynamic_stack 0
		.amdhsa_system_sgpr_private_segment_wavefront_offset 0
		.amdhsa_system_sgpr_workgroup_id_x 1
		.amdhsa_system_sgpr_workgroup_id_y 0
		.amdhsa_system_sgpr_workgroup_id_z 1
		.amdhsa_system_sgpr_workgroup_info 0
		.amdhsa_system_vgpr_workitem_id 0
		.amdhsa_next_free_vgpr 7
		.amdhsa_next_free_sgpr 18
		.amdhsa_reserve_vcc 1
		.amdhsa_reserve_flat_scratch 0
		.amdhsa_float_round_mode_32 0
		.amdhsa_float_round_mode_16_64 0
		.amdhsa_float_denorm_mode_32 3
		.amdhsa_float_denorm_mode_16_64 3
		.amdhsa_dx10_clamp 1
		.amdhsa_ieee_mode 1
		.amdhsa_fp16_overflow 0
		.amdhsa_exception_fp_ieee_invalid_op 0
		.amdhsa_exception_fp_denorm_src 0
		.amdhsa_exception_fp_ieee_div_zero 0
		.amdhsa_exception_fp_ieee_overflow 0
		.amdhsa_exception_fp_ieee_underflow 0
		.amdhsa_exception_fp_ieee_inexact 0
		.amdhsa_exception_int_div_zero 0
	.end_amdhsa_kernel
	.section	.text._ZL19rocblas_axpy_kernelIiLi256EfPKfS1_PfEviT2_lT3_lT_lT4_lS5_li,"axG",@progbits,_ZL19rocblas_axpy_kernelIiLi256EfPKfS1_PfEviT2_lT3_lT_lT4_lS5_li,comdat
.Lfunc_end14:
	.size	_ZL19rocblas_axpy_kernelIiLi256EfPKfS1_PfEviT2_lT3_lT_lT4_lS5_li, .Lfunc_end14-_ZL19rocblas_axpy_kernelIiLi256EfPKfS1_PfEviT2_lT3_lT_lT4_lS5_li
                                        ; -- End function
	.set _ZL19rocblas_axpy_kernelIiLi256EfPKfS1_PfEviT2_lT3_lT_lT4_lS5_li.num_vgpr, 7
	.set _ZL19rocblas_axpy_kernelIiLi256EfPKfS1_PfEviT2_lT3_lT_lT4_lS5_li.num_agpr, 0
	.set _ZL19rocblas_axpy_kernelIiLi256EfPKfS1_PfEviT2_lT3_lT_lT4_lS5_li.numbered_sgpr, 18
	.set _ZL19rocblas_axpy_kernelIiLi256EfPKfS1_PfEviT2_lT3_lT_lT4_lS5_li.num_named_barrier, 0
	.set _ZL19rocblas_axpy_kernelIiLi256EfPKfS1_PfEviT2_lT3_lT_lT4_lS5_li.private_seg_size, 0
	.set _ZL19rocblas_axpy_kernelIiLi256EfPKfS1_PfEviT2_lT3_lT_lT4_lS5_li.uses_vcc, 1
	.set _ZL19rocblas_axpy_kernelIiLi256EfPKfS1_PfEviT2_lT3_lT_lT4_lS5_li.uses_flat_scratch, 0
	.set _ZL19rocblas_axpy_kernelIiLi256EfPKfS1_PfEviT2_lT3_lT_lT4_lS5_li.has_dyn_sized_stack, 0
	.set _ZL19rocblas_axpy_kernelIiLi256EfPKfS1_PfEviT2_lT3_lT_lT4_lS5_li.has_recursion, 0
	.set _ZL19rocblas_axpy_kernelIiLi256EfPKfS1_PfEviT2_lT3_lT_lT4_lS5_li.has_indirect_call, 0
	.section	.AMDGPU.csdata,"",@progbits
; Kernel info:
; codeLenInByte = 356
; TotalNumSgprs: 22
; NumVgprs: 7
; ScratchSize: 0
; MemoryBound: 0
; FloatMode: 240
; IeeeMode: 1
; LDSByteSize: 0 bytes/workgroup (compile time only)
; SGPRBlocks: 2
; VGPRBlocks: 1
; NumSGPRsForWavesPerEU: 22
; NumVGPRsForWavesPerEU: 7
; Occupancy: 10
; WaveLimiterHint : 0
; COMPUTE_PGM_RSRC2:SCRATCH_EN: 0
; COMPUTE_PGM_RSRC2:USER_SGPR: 6
; COMPUTE_PGM_RSRC2:TRAP_HANDLER: 0
; COMPUTE_PGM_RSRC2:TGID_X_EN: 1
; COMPUTE_PGM_RSRC2:TGID_Y_EN: 0
; COMPUTE_PGM_RSRC2:TGID_Z_EN: 1
; COMPUTE_PGM_RSRC2:TIDIG_COMP_CNT: 0
	.section	.text._ZL19rocblas_axpy_kernelIiLi256EffPKfPfEviT2_lT3_lT_lT4_lS5_li,"axG",@progbits,_ZL19rocblas_axpy_kernelIiLi256EffPKfPfEviT2_lT3_lT_lT4_lS5_li,comdat
	.globl	_ZL19rocblas_axpy_kernelIiLi256EffPKfPfEviT2_lT3_lT_lT4_lS5_li ; -- Begin function _ZL19rocblas_axpy_kernelIiLi256EffPKfPfEviT2_lT3_lT_lT4_lS5_li
	.p2align	8
	.type	_ZL19rocblas_axpy_kernelIiLi256EffPKfPfEviT2_lT3_lT_lT4_lS5_li,@function
_ZL19rocblas_axpy_kernelIiLi256EffPKfPfEviT2_lT3_lT_lT4_lS5_li: ; @_ZL19rocblas_axpy_kernelIiLi256EffPKfPfEviT2_lT3_lT_lT4_lS5_li
; %bb.0:
	s_load_dwordx2 s[8:9], s[4:5], 0x0
	v_lshl_or_b32 v0, s6, 8, v0
	v_mov_b32_e32 v1, 0
	s_waitcnt lgkmcnt(0)
	s_ashr_i32 s1, s8, 31
	s_mov_b32 s0, s8
	v_cmp_gt_i64_e32 vcc, s[0:1], v[0:1]
	v_cmp_neq_f32_e64 s[0:1], s9, 0
	s_and_b64 s[0:1], s[0:1], vcc
	s_and_saveexec_b64 s[2:3], s[0:1]
	s_cbranch_execz .LBB15_2
; %bb.1:
	s_load_dword s6, s[4:5], 0x20
	s_load_dwordx4 s[12:15], s[4:5], 0x10
	s_waitcnt lgkmcnt(0)
	v_mad_u64_u32 v[1:2], s[0:1], s6, v0, 0
	s_load_dwordx4 s[0:3], s[4:5], 0x28
	s_load_dwordx2 s[10:11], s[4:5], 0x38
	s_load_dword s8, s[4:5], 0x40
	s_ashr_i32 s6, s6, 31
	v_mad_u64_u32 v[2:3], s[16:17], s6, v0, v[2:3]
	s_waitcnt lgkmcnt(0)
	s_mul_i32 s1, s1, s7
	s_mul_hi_u32 s16, s0, s7
	s_add_i32 s1, s16, s1
	s_mul_i32 s0, s0, s7
	s_ashr_i32 s6, s8, 31
	s_lshl_b64 s[0:1], s[0:1], 2
	s_add_u32 s12, s12, s0
	s_addc_u32 s16, s13, s1
	s_lshl_b64 s[0:1], s[14:15], 2
	s_load_dwordx2 s[4:5], s[4:5], 0x48
	s_add_u32 s14, s12, s0
	v_mad_u64_u32 v[3:4], s[12:13], s8, v0, 0
	s_addc_u32 s0, s16, s1
	v_mov_b32_e32 v6, s0
	v_mad_u64_u32 v[4:5], s[0:1], s6, v0, v[4:5]
	s_waitcnt lgkmcnt(0)
	s_mul_i32 s0, s5, s7
	s_mul_hi_u32 s1, s4, s7
	s_add_i32 s1, s1, s0
	s_mul_i32 s0, s4, s7
	v_lshlrev_b64 v[1:2], 2, v[1:2]
	s_lshl_b64 s[0:1], s[0:1], 2
	s_add_u32 s2, s2, s0
	v_add_co_u32_e32 v0, vcc, s14, v1
	s_addc_u32 s3, s3, s1
	s_lshl_b64 s[0:1], s[10:11], 2
	v_addc_co_u32_e32 v1, vcc, v6, v2, vcc
	s_add_u32 s0, s2, s0
	v_lshlrev_b64 v[2:3], 2, v[3:4]
	s_addc_u32 s1, s3, s1
	v_mov_b32_e32 v4, s1
	v_add_co_u32_e32 v2, vcc, s0, v2
	v_addc_co_u32_e32 v3, vcc, v4, v3, vcc
	global_load_dword v4, v[2:3], off
	global_load_dword v5, v[0:1], off
	s_waitcnt vmcnt(0)
	v_fmac_f32_e32 v4, s9, v5
	global_store_dword v[2:3], v4, off
.LBB15_2:
	s_endpgm
	.section	.rodata,"a",@progbits
	.p2align	6, 0x0
	.amdhsa_kernel _ZL19rocblas_axpy_kernelIiLi256EffPKfPfEviT2_lT3_lT_lT4_lS5_li
		.amdhsa_group_segment_fixed_size 0
		.amdhsa_private_segment_fixed_size 0
		.amdhsa_kernarg_size 84
		.amdhsa_user_sgpr_count 6
		.amdhsa_user_sgpr_private_segment_buffer 1
		.amdhsa_user_sgpr_dispatch_ptr 0
		.amdhsa_user_sgpr_queue_ptr 0
		.amdhsa_user_sgpr_kernarg_segment_ptr 1
		.amdhsa_user_sgpr_dispatch_id 0
		.amdhsa_user_sgpr_flat_scratch_init 0
		.amdhsa_user_sgpr_private_segment_size 0
		.amdhsa_uses_dynamic_stack 0
		.amdhsa_system_sgpr_private_segment_wavefront_offset 0
		.amdhsa_system_sgpr_workgroup_id_x 1
		.amdhsa_system_sgpr_workgroup_id_y 0
		.amdhsa_system_sgpr_workgroup_id_z 1
		.amdhsa_system_sgpr_workgroup_info 0
		.amdhsa_system_vgpr_workitem_id 0
		.amdhsa_next_free_vgpr 7
		.amdhsa_next_free_sgpr 18
		.amdhsa_reserve_vcc 1
		.amdhsa_reserve_flat_scratch 0
		.amdhsa_float_round_mode_32 0
		.amdhsa_float_round_mode_16_64 0
		.amdhsa_float_denorm_mode_32 3
		.amdhsa_float_denorm_mode_16_64 3
		.amdhsa_dx10_clamp 1
		.amdhsa_ieee_mode 1
		.amdhsa_fp16_overflow 0
		.amdhsa_exception_fp_ieee_invalid_op 0
		.amdhsa_exception_fp_denorm_src 0
		.amdhsa_exception_fp_ieee_div_zero 0
		.amdhsa_exception_fp_ieee_overflow 0
		.amdhsa_exception_fp_ieee_underflow 0
		.amdhsa_exception_fp_ieee_inexact 0
		.amdhsa_exception_int_div_zero 0
	.end_amdhsa_kernel
	.section	.text._ZL19rocblas_axpy_kernelIiLi256EffPKfPfEviT2_lT3_lT_lT4_lS5_li,"axG",@progbits,_ZL19rocblas_axpy_kernelIiLi256EffPKfPfEviT2_lT3_lT_lT4_lS5_li,comdat
.Lfunc_end15:
	.size	_ZL19rocblas_axpy_kernelIiLi256EffPKfPfEviT2_lT3_lT_lT4_lS5_li, .Lfunc_end15-_ZL19rocblas_axpy_kernelIiLi256EffPKfPfEviT2_lT3_lT_lT4_lS5_li
                                        ; -- End function
	.set _ZL19rocblas_axpy_kernelIiLi256EffPKfPfEviT2_lT3_lT_lT4_lS5_li.num_vgpr, 7
	.set _ZL19rocblas_axpy_kernelIiLi256EffPKfPfEviT2_lT3_lT_lT4_lS5_li.num_agpr, 0
	.set _ZL19rocblas_axpy_kernelIiLi256EffPKfPfEviT2_lT3_lT_lT4_lS5_li.numbered_sgpr, 18
	.set _ZL19rocblas_axpy_kernelIiLi256EffPKfPfEviT2_lT3_lT_lT4_lS5_li.num_named_barrier, 0
	.set _ZL19rocblas_axpy_kernelIiLi256EffPKfPfEviT2_lT3_lT_lT4_lS5_li.private_seg_size, 0
	.set _ZL19rocblas_axpy_kernelIiLi256EffPKfPfEviT2_lT3_lT_lT4_lS5_li.uses_vcc, 1
	.set _ZL19rocblas_axpy_kernelIiLi256EffPKfPfEviT2_lT3_lT_lT4_lS5_li.uses_flat_scratch, 0
	.set _ZL19rocblas_axpy_kernelIiLi256EffPKfPfEviT2_lT3_lT_lT4_lS5_li.has_dyn_sized_stack, 0
	.set _ZL19rocblas_axpy_kernelIiLi256EffPKfPfEviT2_lT3_lT_lT4_lS5_li.has_recursion, 0
	.set _ZL19rocblas_axpy_kernelIiLi256EffPKfPfEviT2_lT3_lT_lT4_lS5_li.has_indirect_call, 0
	.section	.AMDGPU.csdata,"",@progbits
; Kernel info:
; codeLenInByte = 312
; TotalNumSgprs: 22
; NumVgprs: 7
; ScratchSize: 0
; MemoryBound: 0
; FloatMode: 240
; IeeeMode: 1
; LDSByteSize: 0 bytes/workgroup (compile time only)
; SGPRBlocks: 2
; VGPRBlocks: 1
; NumSGPRsForWavesPerEU: 22
; NumVGPRsForWavesPerEU: 7
; Occupancy: 10
; WaveLimiterHint : 0
; COMPUTE_PGM_RSRC2:SCRATCH_EN: 0
; COMPUTE_PGM_RSRC2:USER_SGPR: 6
; COMPUTE_PGM_RSRC2:TRAP_HANDLER: 0
; COMPUTE_PGM_RSRC2:TGID_X_EN: 1
; COMPUTE_PGM_RSRC2:TGID_Y_EN: 0
; COMPUTE_PGM_RSRC2:TGID_Z_EN: 1
; COMPUTE_PGM_RSRC2:TIDIG_COMP_CNT: 0
	.section	.text._ZL26rocblas_haxpy_mlt_8_kernelILi256EPKDF16_PKdPdEviT0_lT1_llT2_lli,"axG",@progbits,_ZL26rocblas_haxpy_mlt_8_kernelILi256EPKDF16_PKdPdEviT0_lT1_llT2_lli,comdat
	.globl	_ZL26rocblas_haxpy_mlt_8_kernelILi256EPKDF16_PKdPdEviT0_lT1_llT2_lli ; -- Begin function _ZL26rocblas_haxpy_mlt_8_kernelILi256EPKDF16_PKdPdEviT0_lT1_llT2_lli
	.p2align	8
	.type	_ZL26rocblas_haxpy_mlt_8_kernelILi256EPKDF16_PKdPdEviT0_lT1_llT2_lli,@function
_ZL26rocblas_haxpy_mlt_8_kernelILi256EPKDF16_PKdPdEviT0_lT1_llT2_lli: ; @_ZL26rocblas_haxpy_mlt_8_kernelILi256EPKDF16_PKdPdEviT0_lT1_llT2_lli
; %bb.0:
	s_load_dwordx16 s[8:23], s[4:5], 0x8
	v_mov_b32_e32 v1, 0
	s_waitcnt lgkmcnt(0)
	s_mul_i32 s0, s11, s7
	s_mul_hi_u32 s1, s10, s7
	s_add_i32 s1, s1, s0
	s_mul_i32 s0, s10, s7
	s_lshl_b64 s[0:1], s[0:1], 1
	s_add_u32 s0, s8, s0
	s_addc_u32 s1, s9, s1
	global_load_ushort v2, v1, s[0:1]
	s_waitcnt vmcnt(0)
	v_and_b32_e32 v3, 0xffff, v2
	v_lshl_or_b32 v3, v2, 16, v3
	v_and_b32_e32 v3, 0x7fff, v3
	v_cmp_eq_u32_e32 vcc, 0, v3
	s_cbranch_vccnz .LBB16_3
; %bb.1:
	s_load_dword s0, s[4:5], 0x0
	v_lshl_or_b32 v0, s6, 8, v0
	v_lshlrev_b64 v[0:1], 3, v[0:1]
	s_waitcnt lgkmcnt(0)
	s_ashr_i32 s1, s0, 31
	v_cmp_gt_i64_e32 vcc, s[0:1], v[0:1]
	s_and_saveexec_b64 s[0:1], vcc
	s_cbranch_execz .LBB16_3
; %bb.2:
	s_mul_i32 s0, s17, s7
	s_mul_hi_u32 s1, s16, s7
	s_add_i32 s1, s1, s0
	s_mul_i32 s0, s16, s7
	s_lshl_b64 s[0:1], s[0:1], 3
	s_add_u32 s2, s12, s0
	s_addc_u32 s3, s13, s1
	s_lshl_b64 s[0:1], s[14:15], 3
	s_add_u32 s0, s2, s0
	v_lshlrev_b64 v[0:1], 3, v[0:1]
	s_addc_u32 s1, s3, s1
	v_mov_b32_e32 v3, s1
	v_add_co_u32_e32 v11, vcc, s0, v0
	s_mul_i32 s0, s23, s7
	s_mul_hi_u32 s1, s22, s7
	s_add_i32 s1, s1, s0
	s_mul_i32 s0, s22, s7
	s_lshl_b64 s[0:1], s[0:1], 3
	s_add_u32 s2, s18, s0
	s_addc_u32 s3, s19, s1
	s_lshl_b64 s[0:1], s[20:21], 3
	s_add_u32 s0, s2, s0
	v_addc_co_u32_e32 v12, vcc, v3, v1, vcc
	s_addc_u32 s1, s3, s1
	v_mov_b32_e32 v3, s1
	v_add_co_u32_e32 v0, vcc, s0, v0
	v_addc_co_u32_e32 v1, vcc, v3, v1, vcc
	global_load_dwordx4 v[3:6], v[11:12], off
	global_load_dwordx4 v[7:10], v[0:1], off
	s_waitcnt vmcnt(0)
	v_pk_fma_f16 v6, v2, v6, v10 op_sel_hi:[0,1,1]
	v_pk_fma_f16 v5, v2, v5, v9 op_sel_hi:[0,1,1]
	;; [unrolled: 1-line block ×4, first 2 shown]
	global_store_dwordx4 v[0:1], v[3:6], off
.LBB16_3:
	s_endpgm
	.section	.rodata,"a",@progbits
	.p2align	6, 0x0
	.amdhsa_kernel _ZL26rocblas_haxpy_mlt_8_kernelILi256EPKDF16_PKdPdEviT0_lT1_llT2_lli
		.amdhsa_group_segment_fixed_size 0
		.amdhsa_private_segment_fixed_size 0
		.amdhsa_kernarg_size 76
		.amdhsa_user_sgpr_count 6
		.amdhsa_user_sgpr_private_segment_buffer 1
		.amdhsa_user_sgpr_dispatch_ptr 0
		.amdhsa_user_sgpr_queue_ptr 0
		.amdhsa_user_sgpr_kernarg_segment_ptr 1
		.amdhsa_user_sgpr_dispatch_id 0
		.amdhsa_user_sgpr_flat_scratch_init 0
		.amdhsa_user_sgpr_private_segment_size 0
		.amdhsa_uses_dynamic_stack 0
		.amdhsa_system_sgpr_private_segment_wavefront_offset 0
		.amdhsa_system_sgpr_workgroup_id_x 1
		.amdhsa_system_sgpr_workgroup_id_y 0
		.amdhsa_system_sgpr_workgroup_id_z 1
		.amdhsa_system_sgpr_workgroup_info 0
		.amdhsa_system_vgpr_workitem_id 0
		.amdhsa_next_free_vgpr 13
		.amdhsa_next_free_sgpr 24
		.amdhsa_reserve_vcc 1
		.amdhsa_reserve_flat_scratch 0
		.amdhsa_float_round_mode_32 0
		.amdhsa_float_round_mode_16_64 0
		.amdhsa_float_denorm_mode_32 3
		.amdhsa_float_denorm_mode_16_64 3
		.amdhsa_dx10_clamp 1
		.amdhsa_ieee_mode 1
		.amdhsa_fp16_overflow 0
		.amdhsa_exception_fp_ieee_invalid_op 0
		.amdhsa_exception_fp_denorm_src 0
		.amdhsa_exception_fp_ieee_div_zero 0
		.amdhsa_exception_fp_ieee_overflow 0
		.amdhsa_exception_fp_ieee_underflow 0
		.amdhsa_exception_fp_ieee_inexact 0
		.amdhsa_exception_int_div_zero 0
	.end_amdhsa_kernel
	.section	.text._ZL26rocblas_haxpy_mlt_8_kernelILi256EPKDF16_PKdPdEviT0_lT1_llT2_lli,"axG",@progbits,_ZL26rocblas_haxpy_mlt_8_kernelILi256EPKDF16_PKdPdEviT0_lT1_llT2_lli,comdat
.Lfunc_end16:
	.size	_ZL26rocblas_haxpy_mlt_8_kernelILi256EPKDF16_PKdPdEviT0_lT1_llT2_lli, .Lfunc_end16-_ZL26rocblas_haxpy_mlt_8_kernelILi256EPKDF16_PKdPdEviT0_lT1_llT2_lli
                                        ; -- End function
	.set _ZL26rocblas_haxpy_mlt_8_kernelILi256EPKDF16_PKdPdEviT0_lT1_llT2_lli.num_vgpr, 13
	.set _ZL26rocblas_haxpy_mlt_8_kernelILi256EPKDF16_PKdPdEviT0_lT1_llT2_lli.num_agpr, 0
	.set _ZL26rocblas_haxpy_mlt_8_kernelILi256EPKDF16_PKdPdEviT0_lT1_llT2_lli.numbered_sgpr, 24
	.set _ZL26rocblas_haxpy_mlt_8_kernelILi256EPKDF16_PKdPdEviT0_lT1_llT2_lli.num_named_barrier, 0
	.set _ZL26rocblas_haxpy_mlt_8_kernelILi256EPKDF16_PKdPdEviT0_lT1_llT2_lli.private_seg_size, 0
	.set _ZL26rocblas_haxpy_mlt_8_kernelILi256EPKDF16_PKdPdEviT0_lT1_llT2_lli.uses_vcc, 1
	.set _ZL26rocblas_haxpy_mlt_8_kernelILi256EPKDF16_PKdPdEviT0_lT1_llT2_lli.uses_flat_scratch, 0
	.set _ZL26rocblas_haxpy_mlt_8_kernelILi256EPKDF16_PKdPdEviT0_lT1_llT2_lli.has_dyn_sized_stack, 0
	.set _ZL26rocblas_haxpy_mlt_8_kernelILi256EPKDF16_PKdPdEviT0_lT1_llT2_lli.has_recursion, 0
	.set _ZL26rocblas_haxpy_mlt_8_kernelILi256EPKDF16_PKdPdEviT0_lT1_llT2_lli.has_indirect_call, 0
	.section	.AMDGPU.csdata,"",@progbits
; Kernel info:
; codeLenInByte = 308
; TotalNumSgprs: 28
; NumVgprs: 13
; ScratchSize: 0
; MemoryBound: 0
; FloatMode: 240
; IeeeMode: 1
; LDSByteSize: 0 bytes/workgroup (compile time only)
; SGPRBlocks: 3
; VGPRBlocks: 3
; NumSGPRsForWavesPerEU: 28
; NumVGPRsForWavesPerEU: 13
; Occupancy: 10
; WaveLimiterHint : 0
; COMPUTE_PGM_RSRC2:SCRATCH_EN: 0
; COMPUTE_PGM_RSRC2:USER_SGPR: 6
; COMPUTE_PGM_RSRC2:TRAP_HANDLER: 0
; COMPUTE_PGM_RSRC2:TGID_X_EN: 1
; COMPUTE_PGM_RSRC2:TGID_Y_EN: 0
; COMPUTE_PGM_RSRC2:TGID_Z_EN: 1
; COMPUTE_PGM_RSRC2:TIDIG_COMP_CNT: 0
	.section	.text._ZL26rocblas_haxpy_mod_8_kernelILi256EPKdS1_PdEviT0_lT1_llT2_lli,"axG",@progbits,_ZL26rocblas_haxpy_mod_8_kernelILi256EPKdS1_PdEviT0_lT1_llT2_lli,comdat
	.globl	_ZL26rocblas_haxpy_mod_8_kernelILi256EPKdS1_PdEviT0_lT1_llT2_lli ; -- Begin function _ZL26rocblas_haxpy_mod_8_kernelILi256EPKdS1_PdEviT0_lT1_llT2_lli
	.p2align	8
	.type	_ZL26rocblas_haxpy_mod_8_kernelILi256EPKdS1_PdEviT0_lT1_llT2_lli,@function
_ZL26rocblas_haxpy_mod_8_kernelILi256EPKdS1_PdEviT0_lT1_llT2_lli: ; @_ZL26rocblas_haxpy_mod_8_kernelILi256EPKdS1_PdEviT0_lT1_llT2_lli
; %bb.0:
	s_load_dword s2, s[4:5], 0x0
	s_load_dwordx16 s[8:23], s[4:5], 0x8
	v_lshl_or_b32 v0, s6, 8, v0
	v_mov_b32_e32 v1, 0
	s_waitcnt lgkmcnt(0)
	s_ashr_i32 s3, s2, 31
	s_mul_i32 s0, s11, s7
	s_mul_hi_u32 s1, s10, s7
	s_add_i32 s1, s1, s0
	s_mul_i32 s0, s10, s7
	s_lshl_b64 s[0:1], s[0:1], 3
	s_add_u32 s0, s8, s0
	s_addc_u32 s1, s9, s1
	s_load_dwordx2 s[0:1], s[0:1], 0x0
	v_cmp_gt_i64_e32 vcc, s[2:3], v[0:1]
	s_waitcnt lgkmcnt(0)
	v_cmp_neq_f64_e64 s[4:5], s[0:1], 0
	s_and_b64 s[2:3], vcc, s[4:5]
	s_and_saveexec_b64 s[4:5], s[2:3]
	s_cbranch_execz .LBB17_2
; %bb.1:
	s_mul_i32 s2, s17, s7
	s_mul_hi_u32 s3, s16, s7
	s_add_i32 s3, s3, s2
	s_mul_i32 s2, s16, s7
	s_lshl_b64 s[2:3], s[2:3], 3
	s_add_u32 s4, s12, s2
	s_addc_u32 s5, s13, s3
	s_lshl_b64 s[2:3], s[14:15], 3
	s_add_u32 s2, s4, s2
	v_lshlrev_b64 v[0:1], 3, v[0:1]
	s_addc_u32 s3, s5, s3
	v_mov_b32_e32 v3, s3
	v_add_co_u32_e32 v2, vcc, s2, v0
	s_mul_i32 s2, s23, s7
	s_mul_hi_u32 s3, s22, s7
	s_add_i32 s3, s3, s2
	s_mul_i32 s2, s22, s7
	s_lshl_b64 s[2:3], s[2:3], 3
	s_add_u32 s4, s18, s2
	s_addc_u32 s5, s19, s3
	s_lshl_b64 s[2:3], s[20:21], 3
	s_add_u32 s2, s4, s2
	v_addc_co_u32_e32 v3, vcc, v3, v1, vcc
	s_addc_u32 s3, s5, s3
	v_mov_b32_e32 v4, s3
	v_add_co_u32_e32 v0, vcc, s2, v0
	v_addc_co_u32_e32 v1, vcc, v4, v1, vcc
	global_load_dwordx2 v[4:5], v[2:3], off
	global_load_dwordx2 v[6:7], v[0:1], off
	s_waitcnt vmcnt(0)
	v_fma_f64 v[2:3], s[0:1], v[4:5], v[6:7]
	global_store_dwordx2 v[0:1], v[2:3], off
.LBB17_2:
	s_endpgm
	.section	.rodata,"a",@progbits
	.p2align	6, 0x0
	.amdhsa_kernel _ZL26rocblas_haxpy_mod_8_kernelILi256EPKdS1_PdEviT0_lT1_llT2_lli
		.amdhsa_group_segment_fixed_size 0
		.amdhsa_private_segment_fixed_size 0
		.amdhsa_kernarg_size 76
		.amdhsa_user_sgpr_count 6
		.amdhsa_user_sgpr_private_segment_buffer 1
		.amdhsa_user_sgpr_dispatch_ptr 0
		.amdhsa_user_sgpr_queue_ptr 0
		.amdhsa_user_sgpr_kernarg_segment_ptr 1
		.amdhsa_user_sgpr_dispatch_id 0
		.amdhsa_user_sgpr_flat_scratch_init 0
		.amdhsa_user_sgpr_private_segment_size 0
		.amdhsa_uses_dynamic_stack 0
		.amdhsa_system_sgpr_private_segment_wavefront_offset 0
		.amdhsa_system_sgpr_workgroup_id_x 1
		.amdhsa_system_sgpr_workgroup_id_y 0
		.amdhsa_system_sgpr_workgroup_id_z 1
		.amdhsa_system_sgpr_workgroup_info 0
		.amdhsa_system_vgpr_workitem_id 0
		.amdhsa_next_free_vgpr 8
		.amdhsa_next_free_sgpr 24
		.amdhsa_reserve_vcc 1
		.amdhsa_reserve_flat_scratch 0
		.amdhsa_float_round_mode_32 0
		.amdhsa_float_round_mode_16_64 0
		.amdhsa_float_denorm_mode_32 3
		.amdhsa_float_denorm_mode_16_64 3
		.amdhsa_dx10_clamp 1
		.amdhsa_ieee_mode 1
		.amdhsa_fp16_overflow 0
		.amdhsa_exception_fp_ieee_invalid_op 0
		.amdhsa_exception_fp_denorm_src 0
		.amdhsa_exception_fp_ieee_div_zero 0
		.amdhsa_exception_fp_ieee_overflow 0
		.amdhsa_exception_fp_ieee_underflow 0
		.amdhsa_exception_fp_ieee_inexact 0
		.amdhsa_exception_int_div_zero 0
	.end_amdhsa_kernel
	.section	.text._ZL26rocblas_haxpy_mod_8_kernelILi256EPKdS1_PdEviT0_lT1_llT2_lli,"axG",@progbits,_ZL26rocblas_haxpy_mod_8_kernelILi256EPKdS1_PdEviT0_lT1_llT2_lli,comdat
.Lfunc_end17:
	.size	_ZL26rocblas_haxpy_mod_8_kernelILi256EPKdS1_PdEviT0_lT1_llT2_lli, .Lfunc_end17-_ZL26rocblas_haxpy_mod_8_kernelILi256EPKdS1_PdEviT0_lT1_llT2_lli
                                        ; -- End function
	.set _ZL26rocblas_haxpy_mod_8_kernelILi256EPKdS1_PdEviT0_lT1_llT2_lli.num_vgpr, 8
	.set _ZL26rocblas_haxpy_mod_8_kernelILi256EPKdS1_PdEviT0_lT1_llT2_lli.num_agpr, 0
	.set _ZL26rocblas_haxpy_mod_8_kernelILi256EPKdS1_PdEviT0_lT1_llT2_lli.numbered_sgpr, 24
	.set _ZL26rocblas_haxpy_mod_8_kernelILi256EPKdS1_PdEviT0_lT1_llT2_lli.num_named_barrier, 0
	.set _ZL26rocblas_haxpy_mod_8_kernelILi256EPKdS1_PdEviT0_lT1_llT2_lli.private_seg_size, 0
	.set _ZL26rocblas_haxpy_mod_8_kernelILi256EPKdS1_PdEviT0_lT1_llT2_lli.uses_vcc, 1
	.set _ZL26rocblas_haxpy_mod_8_kernelILi256EPKdS1_PdEviT0_lT1_llT2_lli.uses_flat_scratch, 0
	.set _ZL26rocblas_haxpy_mod_8_kernelILi256EPKdS1_PdEviT0_lT1_llT2_lli.has_dyn_sized_stack, 0
	.set _ZL26rocblas_haxpy_mod_8_kernelILi256EPKdS1_PdEviT0_lT1_llT2_lli.has_recursion, 0
	.set _ZL26rocblas_haxpy_mod_8_kernelILi256EPKdS1_PdEviT0_lT1_llT2_lli.has_indirect_call, 0
	.section	.AMDGPU.csdata,"",@progbits
; Kernel info:
; codeLenInByte = 252
; TotalNumSgprs: 28
; NumVgprs: 8
; ScratchSize: 0
; MemoryBound: 0
; FloatMode: 240
; IeeeMode: 1
; LDSByteSize: 0 bytes/workgroup (compile time only)
; SGPRBlocks: 3
; VGPRBlocks: 1
; NumSGPRsForWavesPerEU: 28
; NumVGPRsForWavesPerEU: 8
; Occupancy: 10
; WaveLimiterHint : 0
; COMPUTE_PGM_RSRC2:SCRATCH_EN: 0
; COMPUTE_PGM_RSRC2:USER_SGPR: 6
; COMPUTE_PGM_RSRC2:TRAP_HANDLER: 0
; COMPUTE_PGM_RSRC2:TGID_X_EN: 1
; COMPUTE_PGM_RSRC2:TGID_Y_EN: 0
; COMPUTE_PGM_RSRC2:TGID_Z_EN: 1
; COMPUTE_PGM_RSRC2:TIDIG_COMP_CNT: 0
	.section	.text._ZL26rocblas_haxpy_mlt_8_kernelILi256EDF16_PKdPdEviT0_lT1_llT2_lli,"axG",@progbits,_ZL26rocblas_haxpy_mlt_8_kernelILi256EDF16_PKdPdEviT0_lT1_llT2_lli,comdat
	.globl	_ZL26rocblas_haxpy_mlt_8_kernelILi256EDF16_PKdPdEviT0_lT1_llT2_lli ; -- Begin function _ZL26rocblas_haxpy_mlt_8_kernelILi256EDF16_PKdPdEviT0_lT1_llT2_lli
	.p2align	8
	.type	_ZL26rocblas_haxpy_mlt_8_kernelILi256EDF16_PKdPdEviT0_lT1_llT2_lli,@function
_ZL26rocblas_haxpy_mlt_8_kernelILi256EDF16_PKdPdEviT0_lT1_llT2_lli: ; @_ZL26rocblas_haxpy_mlt_8_kernelILi256EDF16_PKdPdEviT0_lT1_llT2_lli
; %bb.0:
	s_load_dwordx2 s[0:1], s[4:5], 0x0
	s_waitcnt lgkmcnt(0)
	s_pack_ll_b32_b16 s2, s1, s1
	s_and_b32 s2, s2, 0x7fff
	s_cmp_eq_u32 s2, 0
	s_cbranch_scc1 .LBB18_3
; %bb.1:
	v_lshl_or_b32 v0, s6, 8, v0
	v_mov_b32_e32 v1, 0
	v_lshlrev_b64 v[0:1], 3, v[0:1]
	s_ashr_i32 s3, s0, 31
	s_mov_b32 s2, s0
	v_cmp_gt_i64_e32 vcc, s[2:3], v[0:1]
	s_and_saveexec_b64 s[2:3], vcc
	s_cbranch_execz .LBB18_3
; %bb.2:
	s_load_dwordx8 s[8:15], s[4:5], 0x10
	s_load_dwordx4 s[16:19], s[4:5], 0x30
	v_lshlrev_b64 v[0:1], 3, v[0:1]
	s_waitcnt lgkmcnt(0)
	s_mul_i32 s0, s13, s7
	s_mul_hi_u32 s3, s12, s7
	s_mul_i32 s2, s12, s7
	s_add_i32 s3, s3, s0
	s_lshl_b64 s[2:3], s[2:3], 3
	s_add_u32 s0, s8, s2
	s_addc_u32 s4, s9, s3
	s_lshl_b64 s[2:3], s[10:11], 3
	s_add_u32 s0, s0, s2
	s_addc_u32 s2, s4, s3
	v_mov_b32_e32 v2, s2
	v_add_co_u32_e32 v8, vcc, s0, v0
	s_mul_i32 s0, s19, s7
	s_mul_hi_u32 s2, s18, s7
	s_add_i32 s3, s2, s0
	s_mul_i32 s2, s18, s7
	s_lshl_b64 s[2:3], s[2:3], 3
	s_add_u32 s0, s14, s2
	s_addc_u32 s4, s15, s3
	s_lshl_b64 s[2:3], s[16:17], 3
	s_add_u32 s0, s0, s2
	v_addc_co_u32_e32 v9, vcc, v2, v1, vcc
	s_addc_u32 s2, s4, s3
	v_mov_b32_e32 v2, s2
	v_add_co_u32_e32 v10, vcc, s0, v0
	v_addc_co_u32_e32 v11, vcc, v2, v1, vcc
	global_load_dwordx4 v[0:3], v[8:9], off
	global_load_dwordx4 v[4:7], v[10:11], off
	s_waitcnt vmcnt(0)
	v_pk_fma_f16 v3, s1, v3, v7 op_sel_hi:[0,1,1]
	v_pk_fma_f16 v2, s1, v2, v6 op_sel_hi:[0,1,1]
	;; [unrolled: 1-line block ×4, first 2 shown]
	global_store_dwordx4 v[10:11], v[0:3], off
.LBB18_3:
	s_endpgm
	.section	.rodata,"a",@progbits
	.p2align	6, 0x0
	.amdhsa_kernel _ZL26rocblas_haxpy_mlt_8_kernelILi256EDF16_PKdPdEviT0_lT1_llT2_lli
		.amdhsa_group_segment_fixed_size 0
		.amdhsa_private_segment_fixed_size 0
		.amdhsa_kernarg_size 68
		.amdhsa_user_sgpr_count 6
		.amdhsa_user_sgpr_private_segment_buffer 1
		.amdhsa_user_sgpr_dispatch_ptr 0
		.amdhsa_user_sgpr_queue_ptr 0
		.amdhsa_user_sgpr_kernarg_segment_ptr 1
		.amdhsa_user_sgpr_dispatch_id 0
		.amdhsa_user_sgpr_flat_scratch_init 0
		.amdhsa_user_sgpr_private_segment_size 0
		.amdhsa_uses_dynamic_stack 0
		.amdhsa_system_sgpr_private_segment_wavefront_offset 0
		.amdhsa_system_sgpr_workgroup_id_x 1
		.amdhsa_system_sgpr_workgroup_id_y 0
		.amdhsa_system_sgpr_workgroup_id_z 1
		.amdhsa_system_sgpr_workgroup_info 0
		.amdhsa_system_vgpr_workitem_id 0
		.amdhsa_next_free_vgpr 12
		.amdhsa_next_free_sgpr 20
		.amdhsa_reserve_vcc 1
		.amdhsa_reserve_flat_scratch 0
		.amdhsa_float_round_mode_32 0
		.amdhsa_float_round_mode_16_64 0
		.amdhsa_float_denorm_mode_32 3
		.amdhsa_float_denorm_mode_16_64 3
		.amdhsa_dx10_clamp 1
		.amdhsa_ieee_mode 1
		.amdhsa_fp16_overflow 0
		.amdhsa_exception_fp_ieee_invalid_op 0
		.amdhsa_exception_fp_denorm_src 0
		.amdhsa_exception_fp_ieee_div_zero 0
		.amdhsa_exception_fp_ieee_overflow 0
		.amdhsa_exception_fp_ieee_underflow 0
		.amdhsa_exception_fp_ieee_inexact 0
		.amdhsa_exception_int_div_zero 0
	.end_amdhsa_kernel
	.section	.text._ZL26rocblas_haxpy_mlt_8_kernelILi256EDF16_PKdPdEviT0_lT1_llT2_lli,"axG",@progbits,_ZL26rocblas_haxpy_mlt_8_kernelILi256EDF16_PKdPdEviT0_lT1_llT2_lli,comdat
.Lfunc_end18:
	.size	_ZL26rocblas_haxpy_mlt_8_kernelILi256EDF16_PKdPdEviT0_lT1_llT2_lli, .Lfunc_end18-_ZL26rocblas_haxpy_mlt_8_kernelILi256EDF16_PKdPdEviT0_lT1_llT2_lli
                                        ; -- End function
	.set _ZL26rocblas_haxpy_mlt_8_kernelILi256EDF16_PKdPdEviT0_lT1_llT2_lli.num_vgpr, 12
	.set _ZL26rocblas_haxpy_mlt_8_kernelILi256EDF16_PKdPdEviT0_lT1_llT2_lli.num_agpr, 0
	.set _ZL26rocblas_haxpy_mlt_8_kernelILi256EDF16_PKdPdEviT0_lT1_llT2_lli.numbered_sgpr, 20
	.set _ZL26rocblas_haxpy_mlt_8_kernelILi256EDF16_PKdPdEviT0_lT1_llT2_lli.num_named_barrier, 0
	.set _ZL26rocblas_haxpy_mlt_8_kernelILi256EDF16_PKdPdEviT0_lT1_llT2_lli.private_seg_size, 0
	.set _ZL26rocblas_haxpy_mlt_8_kernelILi256EDF16_PKdPdEviT0_lT1_llT2_lli.uses_vcc, 1
	.set _ZL26rocblas_haxpy_mlt_8_kernelILi256EDF16_PKdPdEviT0_lT1_llT2_lli.uses_flat_scratch, 0
	.set _ZL26rocblas_haxpy_mlt_8_kernelILi256EDF16_PKdPdEviT0_lT1_llT2_lli.has_dyn_sized_stack, 0
	.set _ZL26rocblas_haxpy_mlt_8_kernelILi256EDF16_PKdPdEviT0_lT1_llT2_lli.has_recursion, 0
	.set _ZL26rocblas_haxpy_mlt_8_kernelILi256EDF16_PKdPdEviT0_lT1_llT2_lli.has_indirect_call, 0
	.section	.AMDGPU.csdata,"",@progbits
; Kernel info:
; codeLenInByte = 268
; TotalNumSgprs: 24
; NumVgprs: 12
; ScratchSize: 0
; MemoryBound: 0
; FloatMode: 240
; IeeeMode: 1
; LDSByteSize: 0 bytes/workgroup (compile time only)
; SGPRBlocks: 2
; VGPRBlocks: 2
; NumSGPRsForWavesPerEU: 24
; NumVGPRsForWavesPerEU: 12
; Occupancy: 10
; WaveLimiterHint : 0
; COMPUTE_PGM_RSRC2:SCRATCH_EN: 0
; COMPUTE_PGM_RSRC2:USER_SGPR: 6
; COMPUTE_PGM_RSRC2:TRAP_HANDLER: 0
; COMPUTE_PGM_RSRC2:TGID_X_EN: 1
; COMPUTE_PGM_RSRC2:TGID_Y_EN: 0
; COMPUTE_PGM_RSRC2:TGID_Z_EN: 1
; COMPUTE_PGM_RSRC2:TIDIG_COMP_CNT: 0
	.section	.text._ZL26rocblas_haxpy_mod_8_kernelILi256EdPKdPdEviT0_lT1_llT2_lli,"axG",@progbits,_ZL26rocblas_haxpy_mod_8_kernelILi256EdPKdPdEviT0_lT1_llT2_lli,comdat
	.globl	_ZL26rocblas_haxpy_mod_8_kernelILi256EdPKdPdEviT0_lT1_llT2_lli ; -- Begin function _ZL26rocblas_haxpy_mod_8_kernelILi256EdPKdPdEviT0_lT1_llT2_lli
	.p2align	8
	.type	_ZL26rocblas_haxpy_mod_8_kernelILi256EdPKdPdEviT0_lT1_llT2_lli,@function
_ZL26rocblas_haxpy_mod_8_kernelILi256EdPKdPdEviT0_lT1_llT2_lli: ; @_ZL26rocblas_haxpy_mod_8_kernelILi256EdPKdPdEviT0_lT1_llT2_lli
; %bb.0:
	s_load_dwordx2 s[0:1], s[4:5], 0x8
	s_load_dword s2, s[4:5], 0x0
	v_lshl_or_b32 v0, s6, 8, v0
	v_mov_b32_e32 v1, 0
	s_waitcnt lgkmcnt(0)
	v_cmp_neq_f64_e64 s[8:9], s[0:1], 0
	s_ashr_i32 s3, s2, 31
	v_cmp_gt_i64_e32 vcc, s[2:3], v[0:1]
	s_and_b64 s[2:3], s[8:9], vcc
	s_and_saveexec_b64 s[8:9], s[2:3]
	s_cbranch_execz .LBB19_2
; %bb.1:
	s_load_dwordx8 s[8:15], s[4:5], 0x18
	s_load_dwordx4 s[16:19], s[4:5], 0x38
	v_lshlrev_b64 v[0:1], 3, v[0:1]
	s_waitcnt lgkmcnt(0)
	s_mul_i32 s3, s13, s7
	s_mul_hi_u32 s4, s12, s7
	s_mul_i32 s2, s12, s7
	s_add_i32 s3, s4, s3
	s_lshl_b64 s[2:3], s[2:3], 3
	s_add_u32 s4, s8, s2
	s_addc_u32 s5, s9, s3
	s_lshl_b64 s[2:3], s[10:11], 3
	s_add_u32 s2, s4, s2
	s_addc_u32 s3, s5, s3
	v_mov_b32_e32 v3, s3
	v_add_co_u32_e32 v2, vcc, s2, v0
	s_mul_i32 s2, s19, s7
	s_mul_hi_u32 s3, s18, s7
	s_add_i32 s3, s3, s2
	s_mul_i32 s2, s18, s7
	s_lshl_b64 s[2:3], s[2:3], 3
	s_add_u32 s4, s14, s2
	s_addc_u32 s5, s15, s3
	s_lshl_b64 s[2:3], s[16:17], 3
	s_add_u32 s2, s4, s2
	v_addc_co_u32_e32 v3, vcc, v3, v1, vcc
	s_addc_u32 s3, s5, s3
	v_mov_b32_e32 v4, s3
	v_add_co_u32_e32 v0, vcc, s2, v0
	v_addc_co_u32_e32 v1, vcc, v4, v1, vcc
	global_load_dwordx2 v[4:5], v[2:3], off
	global_load_dwordx2 v[6:7], v[0:1], off
	s_waitcnt vmcnt(0)
	v_fma_f64 v[2:3], s[0:1], v[4:5], v[6:7]
	global_store_dwordx2 v[0:1], v[2:3], off
.LBB19_2:
	s_endpgm
	.section	.rodata,"a",@progbits
	.p2align	6, 0x0
	.amdhsa_kernel _ZL26rocblas_haxpy_mod_8_kernelILi256EdPKdPdEviT0_lT1_llT2_lli
		.amdhsa_group_segment_fixed_size 0
		.amdhsa_private_segment_fixed_size 0
		.amdhsa_kernarg_size 76
		.amdhsa_user_sgpr_count 6
		.amdhsa_user_sgpr_private_segment_buffer 1
		.amdhsa_user_sgpr_dispatch_ptr 0
		.amdhsa_user_sgpr_queue_ptr 0
		.amdhsa_user_sgpr_kernarg_segment_ptr 1
		.amdhsa_user_sgpr_dispatch_id 0
		.amdhsa_user_sgpr_flat_scratch_init 0
		.amdhsa_user_sgpr_private_segment_size 0
		.amdhsa_uses_dynamic_stack 0
		.amdhsa_system_sgpr_private_segment_wavefront_offset 0
		.amdhsa_system_sgpr_workgroup_id_x 1
		.amdhsa_system_sgpr_workgroup_id_y 0
		.amdhsa_system_sgpr_workgroup_id_z 1
		.amdhsa_system_sgpr_workgroup_info 0
		.amdhsa_system_vgpr_workitem_id 0
		.amdhsa_next_free_vgpr 8
		.amdhsa_next_free_sgpr 20
		.amdhsa_reserve_vcc 1
		.amdhsa_reserve_flat_scratch 0
		.amdhsa_float_round_mode_32 0
		.amdhsa_float_round_mode_16_64 0
		.amdhsa_float_denorm_mode_32 3
		.amdhsa_float_denorm_mode_16_64 3
		.amdhsa_dx10_clamp 1
		.amdhsa_ieee_mode 1
		.amdhsa_fp16_overflow 0
		.amdhsa_exception_fp_ieee_invalid_op 0
		.amdhsa_exception_fp_denorm_src 0
		.amdhsa_exception_fp_ieee_div_zero 0
		.amdhsa_exception_fp_ieee_overflow 0
		.amdhsa_exception_fp_ieee_underflow 0
		.amdhsa_exception_fp_ieee_inexact 0
		.amdhsa_exception_int_div_zero 0
	.end_amdhsa_kernel
	.section	.text._ZL26rocblas_haxpy_mod_8_kernelILi256EdPKdPdEviT0_lT1_llT2_lli,"axG",@progbits,_ZL26rocblas_haxpy_mod_8_kernelILi256EdPKdPdEviT0_lT1_llT2_lli,comdat
.Lfunc_end19:
	.size	_ZL26rocblas_haxpy_mod_8_kernelILi256EdPKdPdEviT0_lT1_llT2_lli, .Lfunc_end19-_ZL26rocblas_haxpy_mod_8_kernelILi256EdPKdPdEviT0_lT1_llT2_lli
                                        ; -- End function
	.set _ZL26rocblas_haxpy_mod_8_kernelILi256EdPKdPdEviT0_lT1_llT2_lli.num_vgpr, 8
	.set _ZL26rocblas_haxpy_mod_8_kernelILi256EdPKdPdEviT0_lT1_llT2_lli.num_agpr, 0
	.set _ZL26rocblas_haxpy_mod_8_kernelILi256EdPKdPdEviT0_lT1_llT2_lli.numbered_sgpr, 20
	.set _ZL26rocblas_haxpy_mod_8_kernelILi256EdPKdPdEviT0_lT1_llT2_lli.num_named_barrier, 0
	.set _ZL26rocblas_haxpy_mod_8_kernelILi256EdPKdPdEviT0_lT1_llT2_lli.private_seg_size, 0
	.set _ZL26rocblas_haxpy_mod_8_kernelILi256EdPKdPdEviT0_lT1_llT2_lli.uses_vcc, 1
	.set _ZL26rocblas_haxpy_mod_8_kernelILi256EdPKdPdEviT0_lT1_llT2_lli.uses_flat_scratch, 0
	.set _ZL26rocblas_haxpy_mod_8_kernelILi256EdPKdPdEviT0_lT1_llT2_lli.has_dyn_sized_stack, 0
	.set _ZL26rocblas_haxpy_mod_8_kernelILi256EdPKdPdEviT0_lT1_llT2_lli.has_recursion, 0
	.set _ZL26rocblas_haxpy_mod_8_kernelILi256EdPKdPdEviT0_lT1_llT2_lli.has_indirect_call, 0
	.section	.AMDGPU.csdata,"",@progbits
; Kernel info:
; codeLenInByte = 232
; TotalNumSgprs: 24
; NumVgprs: 8
; ScratchSize: 0
; MemoryBound: 0
; FloatMode: 240
; IeeeMode: 1
; LDSByteSize: 0 bytes/workgroup (compile time only)
; SGPRBlocks: 2
; VGPRBlocks: 1
; NumSGPRsForWavesPerEU: 24
; NumVGPRsForWavesPerEU: 8
; Occupancy: 10
; WaveLimiterHint : 0
; COMPUTE_PGM_RSRC2:SCRATCH_EN: 0
; COMPUTE_PGM_RSRC2:USER_SGPR: 6
; COMPUTE_PGM_RSRC2:TRAP_HANDLER: 0
; COMPUTE_PGM_RSRC2:TGID_X_EN: 1
; COMPUTE_PGM_RSRC2:TGID_Y_EN: 0
; COMPUTE_PGM_RSRC2:TGID_Z_EN: 1
; COMPUTE_PGM_RSRC2:TIDIG_COMP_CNT: 0
	.section	.text._ZL22rocblas_saxpy_2_kernelILi256EdPKdS1_PdEviT1_lT2_llT3_lli,"axG",@progbits,_ZL22rocblas_saxpy_2_kernelILi256EdPKdS1_PdEviT1_lT2_llT3_lli,comdat
	.globl	_ZL22rocblas_saxpy_2_kernelILi256EdPKdS1_PdEviT1_lT2_llT3_lli ; -- Begin function _ZL22rocblas_saxpy_2_kernelILi256EdPKdS1_PdEviT1_lT2_llT3_lli
	.p2align	8
	.type	_ZL22rocblas_saxpy_2_kernelILi256EdPKdS1_PdEviT1_lT2_llT3_lli,@function
_ZL22rocblas_saxpy_2_kernelILi256EdPKdS1_PdEviT1_lT2_llT3_lli: ; @_ZL22rocblas_saxpy_2_kernelILi256EdPKdS1_PdEviT1_lT2_llT3_lli
; %bb.0:
	s_load_dwordx4 s[0:3], s[4:5], 0x8
	s_waitcnt lgkmcnt(0)
	s_mul_i32 s3, s3, s7
	s_mul_hi_u32 s8, s2, s7
	s_add_i32 s3, s8, s3
	s_mul_i32 s2, s2, s7
	s_lshl_b64 s[2:3], s[2:3], 3
	s_add_u32 s0, s0, s2
	s_addc_u32 s1, s1, s3
	s_load_dwordx2 s[0:1], s[0:1], 0x0
	s_waitcnt lgkmcnt(0)
	v_cmp_eq_f64_e64 s[2:3], s[0:1], 0
	s_and_b64 vcc, exec, s[2:3]
	s_cbranch_vccnz .LBB20_5
; %bb.1:
	s_load_dwordx2 s[2:3], s[4:5], 0x18
	s_load_dword s8, s[4:5], 0x0
	s_load_dwordx2 s[10:11], s[4:5], 0x30
	s_load_dwordx4 s[12:15], s[4:5], 0x20
	s_load_dwordx4 s[16:19], s[4:5], 0x38
	v_lshlrev_b32_e32 v0, 1, v0
	v_lshl_or_b32 v0, s6, 9, v0
	v_mov_b32_e32 v1, 0
	s_waitcnt lgkmcnt(0)
	s_mul_i32 s4, s15, s7
	s_mul_hi_u32 s5, s14, s7
	s_add_i32 s5, s5, s4
	s_mul_i32 s4, s14, s7
	s_lshl_b64 s[4:5], s[4:5], 3
	s_add_u32 s4, s2, s4
	s_addc_u32 s5, s3, s5
	s_lshl_b64 s[2:3], s[12:13], 3
	s_add_u32 s6, s4, s2
	s_addc_u32 s9, s5, s3
	s_mul_i32 s2, s19, s7
	s_mul_hi_u32 s3, s18, s7
	s_add_i32 s3, s3, s2
	s_mul_i32 s2, s18, s7
	s_lshl_b64 s[2:3], s[2:3], 3
	s_add_u32 s4, s10, s2
	s_addc_u32 s5, s11, s3
	s_lshl_b64 s[2:3], s[16:17], 3
	s_add_u32 s7, s4, s2
	s_addc_u32 s10, s5, s3
	s_add_i32 s2, s8, -1
	s_ashr_i32 s3, s2, 31
	v_cmp_gt_i64_e32 vcc, s[2:3], v[0:1]
	v_lshlrev_b64 v[2:3], 3, v[0:1]
	s_and_saveexec_b64 s[4:5], vcc
	s_cbranch_execz .LBB20_3
; %bb.2:
	v_mov_b32_e32 v4, s10
	v_add_co_u32_e32 v12, vcc, s7, v2
	v_addc_co_u32_e32 v13, vcc, v4, v3, vcc
	v_mov_b32_e32 v9, s9
	v_add_co_u32_e32 v8, vcc, s6, v2
	v_addc_co_u32_e32 v9, vcc, v9, v3, vcc
	global_load_dwordx4 v[4:7], v[12:13], off
	s_nop 0
	global_load_dwordx4 v[8:11], v[8:9], off
	s_waitcnt vmcnt(0)
	v_fma_f64 v[4:5], s[0:1], v[8:9], v[4:5]
	v_fma_f64 v[6:7], s[0:1], v[10:11], v[6:7]
	global_store_dwordx4 v[12:13], v[4:7], off
.LBB20_3:
	s_or_b64 exec, exec, s[4:5]
	s_bitcmp1_b32 s8, 0
	v_cmp_eq_u64_e32 vcc, s[2:3], v[0:1]
	s_cselect_b64 s[2:3], -1, 0
	s_and_b64 s[2:3], s[2:3], vcc
	s_and_saveexec_b64 s[4:5], s[2:3]
	s_cbranch_execz .LBB20_5
; %bb.4:
	v_mov_b32_e32 v1, s10
	v_add_co_u32_e32 v0, vcc, s7, v2
	v_addc_co_u32_e32 v1, vcc, v1, v3, vcc
	v_mov_b32_e32 v6, s9
	v_add_co_u32_e32 v2, vcc, s6, v2
	v_addc_co_u32_e32 v3, vcc, v6, v3, vcc
	global_load_dwordx2 v[4:5], v[0:1], off
	s_nop 0
	global_load_dwordx2 v[2:3], v[2:3], off
	s_waitcnt vmcnt(0)
	v_fma_f64 v[2:3], s[0:1], v[2:3], v[4:5]
	global_store_dwordx2 v[0:1], v[2:3], off
.LBB20_5:
	s_endpgm
	.section	.rodata,"a",@progbits
	.p2align	6, 0x0
	.amdhsa_kernel _ZL22rocblas_saxpy_2_kernelILi256EdPKdS1_PdEviT1_lT2_llT3_lli
		.amdhsa_group_segment_fixed_size 0
		.amdhsa_private_segment_fixed_size 0
		.amdhsa_kernarg_size 76
		.amdhsa_user_sgpr_count 6
		.amdhsa_user_sgpr_private_segment_buffer 1
		.amdhsa_user_sgpr_dispatch_ptr 0
		.amdhsa_user_sgpr_queue_ptr 0
		.amdhsa_user_sgpr_kernarg_segment_ptr 1
		.amdhsa_user_sgpr_dispatch_id 0
		.amdhsa_user_sgpr_flat_scratch_init 0
		.amdhsa_user_sgpr_private_segment_size 0
		.amdhsa_uses_dynamic_stack 0
		.amdhsa_system_sgpr_private_segment_wavefront_offset 0
		.amdhsa_system_sgpr_workgroup_id_x 1
		.amdhsa_system_sgpr_workgroup_id_y 0
		.amdhsa_system_sgpr_workgroup_id_z 1
		.amdhsa_system_sgpr_workgroup_info 0
		.amdhsa_system_vgpr_workitem_id 0
		.amdhsa_next_free_vgpr 14
		.amdhsa_next_free_sgpr 20
		.amdhsa_reserve_vcc 1
		.amdhsa_reserve_flat_scratch 0
		.amdhsa_float_round_mode_32 0
		.amdhsa_float_round_mode_16_64 0
		.amdhsa_float_denorm_mode_32 3
		.amdhsa_float_denorm_mode_16_64 3
		.amdhsa_dx10_clamp 1
		.amdhsa_ieee_mode 1
		.amdhsa_fp16_overflow 0
		.amdhsa_exception_fp_ieee_invalid_op 0
		.amdhsa_exception_fp_denorm_src 0
		.amdhsa_exception_fp_ieee_div_zero 0
		.amdhsa_exception_fp_ieee_overflow 0
		.amdhsa_exception_fp_ieee_underflow 0
		.amdhsa_exception_fp_ieee_inexact 0
		.amdhsa_exception_int_div_zero 0
	.end_amdhsa_kernel
	.section	.text._ZL22rocblas_saxpy_2_kernelILi256EdPKdS1_PdEviT1_lT2_llT3_lli,"axG",@progbits,_ZL22rocblas_saxpy_2_kernelILi256EdPKdS1_PdEviT1_lT2_llT3_lli,comdat
.Lfunc_end20:
	.size	_ZL22rocblas_saxpy_2_kernelILi256EdPKdS1_PdEviT1_lT2_llT3_lli, .Lfunc_end20-_ZL22rocblas_saxpy_2_kernelILi256EdPKdS1_PdEviT1_lT2_llT3_lli
                                        ; -- End function
	.set _ZL22rocblas_saxpy_2_kernelILi256EdPKdS1_PdEviT1_lT2_llT3_lli.num_vgpr, 14
	.set _ZL22rocblas_saxpy_2_kernelILi256EdPKdS1_PdEviT1_lT2_llT3_lli.num_agpr, 0
	.set _ZL22rocblas_saxpy_2_kernelILi256EdPKdS1_PdEviT1_lT2_llT3_lli.numbered_sgpr, 20
	.set _ZL22rocblas_saxpy_2_kernelILi256EdPKdS1_PdEviT1_lT2_llT3_lli.num_named_barrier, 0
	.set _ZL22rocblas_saxpy_2_kernelILi256EdPKdS1_PdEviT1_lT2_llT3_lli.private_seg_size, 0
	.set _ZL22rocblas_saxpy_2_kernelILi256EdPKdS1_PdEviT1_lT2_llT3_lli.uses_vcc, 1
	.set _ZL22rocblas_saxpy_2_kernelILi256EdPKdS1_PdEviT1_lT2_llT3_lli.uses_flat_scratch, 0
	.set _ZL22rocblas_saxpy_2_kernelILi256EdPKdS1_PdEviT1_lT2_llT3_lli.has_dyn_sized_stack, 0
	.set _ZL22rocblas_saxpy_2_kernelILi256EdPKdS1_PdEviT1_lT2_llT3_lli.has_recursion, 0
	.set _ZL22rocblas_saxpy_2_kernelILi256EdPKdS1_PdEviT1_lT2_llT3_lli.has_indirect_call, 0
	.section	.AMDGPU.csdata,"",@progbits
; Kernel info:
; codeLenInByte = 404
; TotalNumSgprs: 24
; NumVgprs: 14
; ScratchSize: 0
; MemoryBound: 0
; FloatMode: 240
; IeeeMode: 1
; LDSByteSize: 0 bytes/workgroup (compile time only)
; SGPRBlocks: 2
; VGPRBlocks: 3
; NumSGPRsForWavesPerEU: 24
; NumVGPRsForWavesPerEU: 14
; Occupancy: 10
; WaveLimiterHint : 0
; COMPUTE_PGM_RSRC2:SCRATCH_EN: 0
; COMPUTE_PGM_RSRC2:USER_SGPR: 6
; COMPUTE_PGM_RSRC2:TRAP_HANDLER: 0
; COMPUTE_PGM_RSRC2:TGID_X_EN: 1
; COMPUTE_PGM_RSRC2:TGID_Y_EN: 0
; COMPUTE_PGM_RSRC2:TGID_Z_EN: 1
; COMPUTE_PGM_RSRC2:TIDIG_COMP_CNT: 0
	.section	.text._ZL22rocblas_saxpy_2_kernelILi256EddPKdPdEviT1_lT2_llT3_lli,"axG",@progbits,_ZL22rocblas_saxpy_2_kernelILi256EddPKdPdEviT1_lT2_llT3_lli,comdat
	.globl	_ZL22rocblas_saxpy_2_kernelILi256EddPKdPdEviT1_lT2_llT3_lli ; -- Begin function _ZL22rocblas_saxpy_2_kernelILi256EddPKdPdEviT1_lT2_llT3_lli
	.p2align	8
	.type	_ZL22rocblas_saxpy_2_kernelILi256EddPKdPdEviT1_lT2_llT3_lli,@function
_ZL22rocblas_saxpy_2_kernelILi256EddPKdPdEviT1_lT2_llT3_lli: ; @_ZL22rocblas_saxpy_2_kernelILi256EddPKdPdEviT1_lT2_llT3_lli
; %bb.0:
	s_load_dwordx2 s[0:1], s[4:5], 0x8
	s_waitcnt lgkmcnt(0)
	v_cmp_eq_f64_e64 s[2:3], s[0:1], 0
	s_and_b64 vcc, exec, s[2:3]
	s_cbranch_vccnz .LBB21_5
; %bb.1:
	s_load_dwordx2 s[2:3], s[4:5], 0x18
	s_load_dword s8, s[4:5], 0x0
	s_load_dwordx2 s[10:11], s[4:5], 0x30
	s_load_dwordx4 s[12:15], s[4:5], 0x20
	s_load_dwordx4 s[16:19], s[4:5], 0x38
	v_lshlrev_b32_e32 v0, 1, v0
	v_lshl_or_b32 v0, s6, 9, v0
	v_mov_b32_e32 v1, 0
	s_waitcnt lgkmcnt(0)
	s_mul_i32 s4, s15, s7
	s_mul_hi_u32 s5, s14, s7
	s_add_i32 s5, s5, s4
	s_mul_i32 s4, s14, s7
	s_lshl_b64 s[4:5], s[4:5], 3
	s_add_u32 s4, s2, s4
	s_addc_u32 s5, s3, s5
	s_lshl_b64 s[2:3], s[12:13], 3
	s_add_u32 s6, s4, s2
	s_addc_u32 s9, s5, s3
	s_mul_i32 s2, s19, s7
	s_mul_hi_u32 s3, s18, s7
	s_add_i32 s3, s3, s2
	s_mul_i32 s2, s18, s7
	s_lshl_b64 s[2:3], s[2:3], 3
	s_add_u32 s4, s10, s2
	s_addc_u32 s5, s11, s3
	s_lshl_b64 s[2:3], s[16:17], 3
	s_add_u32 s7, s4, s2
	s_addc_u32 s10, s5, s3
	s_add_i32 s2, s8, -1
	s_ashr_i32 s3, s2, 31
	v_cmp_gt_i64_e32 vcc, s[2:3], v[0:1]
	v_lshlrev_b64 v[2:3], 3, v[0:1]
	s_and_saveexec_b64 s[4:5], vcc
	s_cbranch_execz .LBB21_3
; %bb.2:
	v_mov_b32_e32 v4, s10
	v_add_co_u32_e32 v12, vcc, s7, v2
	v_addc_co_u32_e32 v13, vcc, v4, v3, vcc
	v_mov_b32_e32 v9, s9
	v_add_co_u32_e32 v8, vcc, s6, v2
	v_addc_co_u32_e32 v9, vcc, v9, v3, vcc
	global_load_dwordx4 v[4:7], v[12:13], off
	s_nop 0
	global_load_dwordx4 v[8:11], v[8:9], off
	s_waitcnt vmcnt(0)
	v_fma_f64 v[4:5], s[0:1], v[8:9], v[4:5]
	v_fma_f64 v[6:7], s[0:1], v[10:11], v[6:7]
	global_store_dwordx4 v[12:13], v[4:7], off
.LBB21_3:
	s_or_b64 exec, exec, s[4:5]
	s_bitcmp1_b32 s8, 0
	v_cmp_eq_u64_e32 vcc, s[2:3], v[0:1]
	s_cselect_b64 s[2:3], -1, 0
	s_and_b64 s[2:3], s[2:3], vcc
	s_and_saveexec_b64 s[4:5], s[2:3]
	s_cbranch_execz .LBB21_5
; %bb.4:
	v_mov_b32_e32 v1, s10
	v_add_co_u32_e32 v0, vcc, s7, v2
	v_addc_co_u32_e32 v1, vcc, v1, v3, vcc
	v_mov_b32_e32 v6, s9
	v_add_co_u32_e32 v2, vcc, s6, v2
	v_addc_co_u32_e32 v3, vcc, v6, v3, vcc
	global_load_dwordx2 v[4:5], v[0:1], off
	s_nop 0
	global_load_dwordx2 v[2:3], v[2:3], off
	s_waitcnt vmcnt(0)
	v_fma_f64 v[2:3], s[0:1], v[2:3], v[4:5]
	global_store_dwordx2 v[0:1], v[2:3], off
.LBB21_5:
	s_endpgm
	.section	.rodata,"a",@progbits
	.p2align	6, 0x0
	.amdhsa_kernel _ZL22rocblas_saxpy_2_kernelILi256EddPKdPdEviT1_lT2_llT3_lli
		.amdhsa_group_segment_fixed_size 0
		.amdhsa_private_segment_fixed_size 0
		.amdhsa_kernarg_size 76
		.amdhsa_user_sgpr_count 6
		.amdhsa_user_sgpr_private_segment_buffer 1
		.amdhsa_user_sgpr_dispatch_ptr 0
		.amdhsa_user_sgpr_queue_ptr 0
		.amdhsa_user_sgpr_kernarg_segment_ptr 1
		.amdhsa_user_sgpr_dispatch_id 0
		.amdhsa_user_sgpr_flat_scratch_init 0
		.amdhsa_user_sgpr_private_segment_size 0
		.amdhsa_uses_dynamic_stack 0
		.amdhsa_system_sgpr_private_segment_wavefront_offset 0
		.amdhsa_system_sgpr_workgroup_id_x 1
		.amdhsa_system_sgpr_workgroup_id_y 0
		.amdhsa_system_sgpr_workgroup_id_z 1
		.amdhsa_system_sgpr_workgroup_info 0
		.amdhsa_system_vgpr_workitem_id 0
		.amdhsa_next_free_vgpr 14
		.amdhsa_next_free_sgpr 20
		.amdhsa_reserve_vcc 1
		.amdhsa_reserve_flat_scratch 0
		.amdhsa_float_round_mode_32 0
		.amdhsa_float_round_mode_16_64 0
		.amdhsa_float_denorm_mode_32 3
		.amdhsa_float_denorm_mode_16_64 3
		.amdhsa_dx10_clamp 1
		.amdhsa_ieee_mode 1
		.amdhsa_fp16_overflow 0
		.amdhsa_exception_fp_ieee_invalid_op 0
		.amdhsa_exception_fp_denorm_src 0
		.amdhsa_exception_fp_ieee_div_zero 0
		.amdhsa_exception_fp_ieee_overflow 0
		.amdhsa_exception_fp_ieee_underflow 0
		.amdhsa_exception_fp_ieee_inexact 0
		.amdhsa_exception_int_div_zero 0
	.end_amdhsa_kernel
	.section	.text._ZL22rocblas_saxpy_2_kernelILi256EddPKdPdEviT1_lT2_llT3_lli,"axG",@progbits,_ZL22rocblas_saxpy_2_kernelILi256EddPKdPdEviT1_lT2_llT3_lli,comdat
.Lfunc_end21:
	.size	_ZL22rocblas_saxpy_2_kernelILi256EddPKdPdEviT1_lT2_llT3_lli, .Lfunc_end21-_ZL22rocblas_saxpy_2_kernelILi256EddPKdPdEviT1_lT2_llT3_lli
                                        ; -- End function
	.set _ZL22rocblas_saxpy_2_kernelILi256EddPKdPdEviT1_lT2_llT3_lli.num_vgpr, 14
	.set _ZL22rocblas_saxpy_2_kernelILi256EddPKdPdEviT1_lT2_llT3_lli.num_agpr, 0
	.set _ZL22rocblas_saxpy_2_kernelILi256EddPKdPdEviT1_lT2_llT3_lli.numbered_sgpr, 20
	.set _ZL22rocblas_saxpy_2_kernelILi256EddPKdPdEviT1_lT2_llT3_lli.num_named_barrier, 0
	.set _ZL22rocblas_saxpy_2_kernelILi256EddPKdPdEviT1_lT2_llT3_lli.private_seg_size, 0
	.set _ZL22rocblas_saxpy_2_kernelILi256EddPKdPdEviT1_lT2_llT3_lli.uses_vcc, 1
	.set _ZL22rocblas_saxpy_2_kernelILi256EddPKdPdEviT1_lT2_llT3_lli.uses_flat_scratch, 0
	.set _ZL22rocblas_saxpy_2_kernelILi256EddPKdPdEviT1_lT2_llT3_lli.has_dyn_sized_stack, 0
	.set _ZL22rocblas_saxpy_2_kernelILi256EddPKdPdEviT1_lT2_llT3_lli.has_recursion, 0
	.set _ZL22rocblas_saxpy_2_kernelILi256EddPKdPdEviT1_lT2_llT3_lli.has_indirect_call, 0
	.section	.AMDGPU.csdata,"",@progbits
; Kernel info:
; codeLenInByte = 364
; TotalNumSgprs: 24
; NumVgprs: 14
; ScratchSize: 0
; MemoryBound: 0
; FloatMode: 240
; IeeeMode: 1
; LDSByteSize: 0 bytes/workgroup (compile time only)
; SGPRBlocks: 2
; VGPRBlocks: 3
; NumSGPRsForWavesPerEU: 24
; NumVGPRsForWavesPerEU: 14
; Occupancy: 10
; WaveLimiterHint : 0
; COMPUTE_PGM_RSRC2:SCRATCH_EN: 0
; COMPUTE_PGM_RSRC2:USER_SGPR: 6
; COMPUTE_PGM_RSRC2:TRAP_HANDLER: 0
; COMPUTE_PGM_RSRC2:TGID_X_EN: 1
; COMPUTE_PGM_RSRC2:TGID_Y_EN: 0
; COMPUTE_PGM_RSRC2:TGID_Z_EN: 1
; COMPUTE_PGM_RSRC2:TIDIG_COMP_CNT: 0
	.section	.text._ZL27rocblas_axpy_kernel_batchedIiLi128ELi8EdPKdS1_PdEviT3_lT4_lT_lT5_lS5_li,"axG",@progbits,_ZL27rocblas_axpy_kernel_batchedIiLi128ELi8EdPKdS1_PdEviT3_lT4_lT_lT5_lS5_li,comdat
	.globl	_ZL27rocblas_axpy_kernel_batchedIiLi128ELi8EdPKdS1_PdEviT3_lT4_lT_lT5_lS5_li ; -- Begin function _ZL27rocblas_axpy_kernel_batchedIiLi128ELi8EdPKdS1_PdEviT3_lT4_lT_lT5_lS5_li
	.p2align	8
	.type	_ZL27rocblas_axpy_kernel_batchedIiLi128ELi8EdPKdS1_PdEviT3_lT4_lT_lT5_lS5_li,@function
_ZL27rocblas_axpy_kernel_batchedIiLi128ELi8EdPKdS1_PdEviT3_lT4_lT_lT5_lS5_li: ; @_ZL27rocblas_axpy_kernel_batchedIiLi128ELi8EdPKdS1_PdEviT3_lT4_lT_lT5_lS5_li
; %bb.0:
	s_load_dword s0, s[4:5], 0x0
	v_lshl_add_u32 v2, s6, 7, v0
	v_mov_b32_e32 v3, 0
	s_waitcnt lgkmcnt(0)
	s_ashr_i32 s1, s0, 31
	v_cmp_gt_i64_e32 vcc, s[0:1], v[2:3]
	s_and_saveexec_b64 s[0:1], vcc
	s_cbranch_execz .LBB22_13
; %bb.1:
	s_load_dword s20, s[4:5], 0x28
	s_load_dwordx8 s[8:15], s[4:5], 0x8
	s_load_dwordx4 s[0:3], s[4:5], 0x30
	s_load_dwordx2 s[18:19], s[4:5], 0x40
	s_load_dword s22, s[4:5], 0x48
	s_load_dwordx2 s[16:17], s[4:5], 0x50
	s_load_dword s6, s[4:5], 0x58
	s_waitcnt lgkmcnt(0)
	v_mad_u64_u32 v[3:4], s[4:5], s20, v2, 0
	v_mad_u64_u32 v[7:8], s[4:5], s22, v2, 0
	s_ashr_i32 s21, s20, 31
	v_mov_b32_e32 v0, v4
	v_mad_u64_u32 v[4:5], s[4:5], s21, v2, v[0:1]
	s_ashr_i32 s20, s22, 31
	v_mov_b32_e32 v0, v8
	v_mad_u64_u32 v[5:6], s[4:5], s20, v2, v[0:1]
	v_lshlrev_b32_e32 v0, 2, v1
	s_lshl_b64 s[4:5], s[14:15], 3
	v_lshl_add_u32 v6, s7, 5, v0
	s_add_u32 s4, s12, s4
	v_lshlrev_b64 v[0:1], 3, v[3:4]
	s_addc_u32 s5, s13, s5
	v_mov_b32_e32 v8, v5
	v_mov_b32_e32 v3, s5
	v_add_co_u32_e32 v2, vcc, s4, v0
	s_lshl_b64 s[4:5], s[18:19], 3
	v_addc_co_u32_e32 v3, vcc, v3, v1, vcc
	s_add_u32 s2, s2, s4
	v_lshlrev_b64 v[0:1], 3, v[7:8]
	s_addc_u32 s3, s3, s5
	v_mov_b32_e32 v5, s3
	v_add_co_u32_e32 v4, vcc, s2, v0
	v_addc_co_u32_e32 v5, vcc, v5, v1, vcc
	v_cmp_gt_u32_e32 vcc, s6, v6
	s_and_saveexec_b64 s[2:3], vcc
	s_cbranch_execz .LBB22_4
; %bb.2:
	v_mad_u64_u32 v[0:1], s[4:5], s10, v6, 0
	v_mad_u64_u32 v[7:8], s[4:5], s11, v6, v[1:2]
	v_mov_b32_e32 v8, s9
	v_mov_b32_e32 v1, v7
	v_lshlrev_b64 v[0:1], 3, v[0:1]
	v_add_co_u32_e32 v0, vcc, s8, v0
	v_addc_co_u32_e32 v1, vcc, v8, v1, vcc
	global_load_dwordx2 v[0:1], v[0:1], off
	s_waitcnt vmcnt(0)
	v_cmp_neq_f64_e32 vcc, 0, v[0:1]
	s_and_b64 exec, exec, vcc
	s_cbranch_execz .LBB22_4
; %bb.3:
	v_mad_u64_u32 v[7:8], s[4:5], s0, v6, 0
	v_mad_u64_u32 v[9:10], s[4:5], s16, v6, 0
	;; [unrolled: 1-line block ×3, first 2 shown]
	v_mov_b32_e32 v8, v11
	v_mad_u64_u32 v[10:11], s[4:5], s17, v6, v[10:11]
	v_lshlrev_b64 v[7:8], 3, v[7:8]
	v_add_co_u32_e32 v7, vcc, v2, v7
	v_lshlrev_b64 v[9:10], 3, v[9:10]
	v_addc_co_u32_e32 v8, vcc, v3, v8, vcc
	v_add_co_u32_e32 v9, vcc, v4, v9
	v_addc_co_u32_e32 v10, vcc, v5, v10, vcc
	global_load_dwordx2 v[11:12], v[9:10], off
	global_load_dwordx2 v[13:14], v[7:8], off
	s_waitcnt vmcnt(0)
	v_fma_f64 v[0:1], v[0:1], v[13:14], v[11:12]
	global_store_dwordx2 v[9:10], v[0:1], off
.LBB22_4:
	s_or_b64 exec, exec, s[2:3]
	v_or_b32_e32 v7, 1, v6
	v_cmp_gt_u32_e32 vcc, s6, v7
	s_and_saveexec_b64 s[2:3], vcc
	s_cbranch_execz .LBB22_7
; %bb.5:
	v_mad_u64_u32 v[0:1], s[4:5], s10, v7, 0
	v_mad_u64_u32 v[8:9], s[4:5], s11, v7, v[1:2]
	v_mov_b32_e32 v9, s9
	v_mov_b32_e32 v1, v8
	v_lshlrev_b64 v[0:1], 3, v[0:1]
	v_add_co_u32_e32 v0, vcc, s8, v0
	v_addc_co_u32_e32 v1, vcc, v9, v1, vcc
	global_load_dwordx2 v[0:1], v[0:1], off
	s_waitcnt vmcnt(0)
	v_cmp_neq_f64_e32 vcc, 0, v[0:1]
	s_and_b64 exec, exec, vcc
	s_cbranch_execz .LBB22_7
; %bb.6:
	v_mad_u64_u32 v[8:9], s[4:5], s0, v7, 0
	v_mad_u64_u32 v[10:11], s[4:5], s16, v7, 0
	;; [unrolled: 1-line block ×3, first 2 shown]
	v_mov_b32_e32 v9, v12
	v_mad_u64_u32 v[11:12], s[4:5], s17, v7, v[11:12]
	v_lshlrev_b64 v[8:9], 3, v[8:9]
	v_add_co_u32_e32 v7, vcc, v2, v8
	v_addc_co_u32_e32 v8, vcc, v3, v9, vcc
	v_lshlrev_b64 v[9:10], 3, v[10:11]
	v_add_co_u32_e32 v9, vcc, v4, v9
	v_addc_co_u32_e32 v10, vcc, v5, v10, vcc
	global_load_dwordx2 v[11:12], v[9:10], off
	global_load_dwordx2 v[13:14], v[7:8], off
	s_waitcnt vmcnt(0)
	v_fma_f64 v[0:1], v[0:1], v[13:14], v[11:12]
	global_store_dwordx2 v[9:10], v[0:1], off
.LBB22_7:
	s_or_b64 exec, exec, s[2:3]
	v_or_b32_e32 v7, 2, v6
	v_cmp_gt_u32_e32 vcc, s6, v7
	s_and_saveexec_b64 s[2:3], vcc
	s_cbranch_execz .LBB22_10
; %bb.8:
	v_mad_u64_u32 v[0:1], s[4:5], s10, v7, 0
	v_mad_u64_u32 v[8:9], s[4:5], s11, v7, v[1:2]
	v_mov_b32_e32 v9, s9
	v_mov_b32_e32 v1, v8
	v_lshlrev_b64 v[0:1], 3, v[0:1]
	v_add_co_u32_e32 v0, vcc, s8, v0
	v_addc_co_u32_e32 v1, vcc, v9, v1, vcc
	global_load_dwordx2 v[0:1], v[0:1], off
	s_waitcnt vmcnt(0)
	v_cmp_neq_f64_e32 vcc, 0, v[0:1]
	s_and_b64 exec, exec, vcc
	s_cbranch_execz .LBB22_10
; %bb.9:
	v_mad_u64_u32 v[8:9], s[4:5], s0, v7, 0
	v_mad_u64_u32 v[10:11], s[4:5], s16, v7, 0
	;; [unrolled: 1-line block ×3, first 2 shown]
	v_mov_b32_e32 v9, v12
	v_mad_u64_u32 v[11:12], s[4:5], s17, v7, v[11:12]
	v_lshlrev_b64 v[8:9], 3, v[8:9]
	v_add_co_u32_e32 v7, vcc, v2, v8
	v_addc_co_u32_e32 v8, vcc, v3, v9, vcc
	v_lshlrev_b64 v[9:10], 3, v[10:11]
	v_add_co_u32_e32 v9, vcc, v4, v9
	v_addc_co_u32_e32 v10, vcc, v5, v10, vcc
	global_load_dwordx2 v[11:12], v[9:10], off
	global_load_dwordx2 v[13:14], v[7:8], off
	s_waitcnt vmcnt(0)
	v_fma_f64 v[0:1], v[0:1], v[13:14], v[11:12]
	global_store_dwordx2 v[9:10], v[0:1], off
.LBB22_10:
	s_or_b64 exec, exec, s[2:3]
	v_or_b32_e32 v6, 3, v6
	v_cmp_gt_u32_e32 vcc, s6, v6
	s_and_b64 exec, exec, vcc
	s_cbranch_execz .LBB22_13
; %bb.11:
	v_mad_u64_u32 v[0:1], s[2:3], s10, v6, 0
	v_mad_u64_u32 v[7:8], s[2:3], s11, v6, v[1:2]
	v_mov_b32_e32 v8, s9
	v_mov_b32_e32 v1, v7
	v_lshlrev_b64 v[0:1], 3, v[0:1]
	v_add_co_u32_e32 v0, vcc, s8, v0
	v_addc_co_u32_e32 v1, vcc, v8, v1, vcc
	global_load_dwordx2 v[0:1], v[0:1], off
	s_waitcnt vmcnt(0)
	v_cmp_neq_f64_e32 vcc, 0, v[0:1]
	s_and_b64 exec, exec, vcc
	s_cbranch_execz .LBB22_13
; %bb.12:
	v_mad_u64_u32 v[7:8], s[2:3], s0, v6, 0
	v_mad_u64_u32 v[9:10], s[2:3], s16, v6, 0
	;; [unrolled: 1-line block ×3, first 2 shown]
	v_mov_b32_e32 v8, v11
	v_mad_u64_u32 v[10:11], s[0:1], s17, v6, v[10:11]
	v_lshlrev_b64 v[7:8], 3, v[7:8]
	v_add_co_u32_e32 v2, vcc, v2, v7
	v_lshlrev_b64 v[6:7], 3, v[9:10]
	v_addc_co_u32_e32 v3, vcc, v3, v8, vcc
	v_add_co_u32_e32 v4, vcc, v4, v6
	v_addc_co_u32_e32 v5, vcc, v5, v7, vcc
	global_load_dwordx2 v[6:7], v[4:5], off
	global_load_dwordx2 v[8:9], v[2:3], off
	s_waitcnt vmcnt(0)
	v_fma_f64 v[0:1], v[0:1], v[8:9], v[6:7]
	global_store_dwordx2 v[4:5], v[0:1], off
.LBB22_13:
	s_endpgm
	.section	.rodata,"a",@progbits
	.p2align	6, 0x0
	.amdhsa_kernel _ZL27rocblas_axpy_kernel_batchedIiLi128ELi8EdPKdS1_PdEviT3_lT4_lT_lT5_lS5_li
		.amdhsa_group_segment_fixed_size 0
		.amdhsa_private_segment_fixed_size 0
		.amdhsa_kernarg_size 92
		.amdhsa_user_sgpr_count 6
		.amdhsa_user_sgpr_private_segment_buffer 1
		.amdhsa_user_sgpr_dispatch_ptr 0
		.amdhsa_user_sgpr_queue_ptr 0
		.amdhsa_user_sgpr_kernarg_segment_ptr 1
		.amdhsa_user_sgpr_dispatch_id 0
		.amdhsa_user_sgpr_flat_scratch_init 0
		.amdhsa_user_sgpr_private_segment_size 0
		.amdhsa_uses_dynamic_stack 0
		.amdhsa_system_sgpr_private_segment_wavefront_offset 0
		.amdhsa_system_sgpr_workgroup_id_x 1
		.amdhsa_system_sgpr_workgroup_id_y 0
		.amdhsa_system_sgpr_workgroup_id_z 1
		.amdhsa_system_sgpr_workgroup_info 0
		.amdhsa_system_vgpr_workitem_id 1
		.amdhsa_next_free_vgpr 15
		.amdhsa_next_free_sgpr 23
		.amdhsa_reserve_vcc 1
		.amdhsa_reserve_flat_scratch 0
		.amdhsa_float_round_mode_32 0
		.amdhsa_float_round_mode_16_64 0
		.amdhsa_float_denorm_mode_32 3
		.amdhsa_float_denorm_mode_16_64 3
		.amdhsa_dx10_clamp 1
		.amdhsa_ieee_mode 1
		.amdhsa_fp16_overflow 0
		.amdhsa_exception_fp_ieee_invalid_op 0
		.amdhsa_exception_fp_denorm_src 0
		.amdhsa_exception_fp_ieee_div_zero 0
		.amdhsa_exception_fp_ieee_overflow 0
		.amdhsa_exception_fp_ieee_underflow 0
		.amdhsa_exception_fp_ieee_inexact 0
		.amdhsa_exception_int_div_zero 0
	.end_amdhsa_kernel
	.section	.text._ZL27rocblas_axpy_kernel_batchedIiLi128ELi8EdPKdS1_PdEviT3_lT4_lT_lT5_lS5_li,"axG",@progbits,_ZL27rocblas_axpy_kernel_batchedIiLi128ELi8EdPKdS1_PdEviT3_lT4_lT_lT5_lS5_li,comdat
.Lfunc_end22:
	.size	_ZL27rocblas_axpy_kernel_batchedIiLi128ELi8EdPKdS1_PdEviT3_lT4_lT_lT5_lS5_li, .Lfunc_end22-_ZL27rocblas_axpy_kernel_batchedIiLi128ELi8EdPKdS1_PdEviT3_lT4_lT_lT5_lS5_li
                                        ; -- End function
	.set _ZL27rocblas_axpy_kernel_batchedIiLi128ELi8EdPKdS1_PdEviT3_lT4_lT_lT5_lS5_li.num_vgpr, 15
	.set _ZL27rocblas_axpy_kernel_batchedIiLi128ELi8EdPKdS1_PdEviT3_lT4_lT_lT5_lS5_li.num_agpr, 0
	.set _ZL27rocblas_axpy_kernel_batchedIiLi128ELi8EdPKdS1_PdEviT3_lT4_lT_lT5_lS5_li.numbered_sgpr, 23
	.set _ZL27rocblas_axpy_kernel_batchedIiLi128ELi8EdPKdS1_PdEviT3_lT4_lT_lT5_lS5_li.num_named_barrier, 0
	.set _ZL27rocblas_axpy_kernel_batchedIiLi128ELi8EdPKdS1_PdEviT3_lT4_lT_lT5_lS5_li.private_seg_size, 0
	.set _ZL27rocblas_axpy_kernel_batchedIiLi128ELi8EdPKdS1_PdEviT3_lT4_lT_lT5_lS5_li.uses_vcc, 1
	.set _ZL27rocblas_axpy_kernel_batchedIiLi128ELi8EdPKdS1_PdEviT3_lT4_lT_lT5_lS5_li.uses_flat_scratch, 0
	.set _ZL27rocblas_axpy_kernel_batchedIiLi128ELi8EdPKdS1_PdEviT3_lT4_lT_lT5_lS5_li.has_dyn_sized_stack, 0
	.set _ZL27rocblas_axpy_kernel_batchedIiLi128ELi8EdPKdS1_PdEviT3_lT4_lT_lT5_lS5_li.has_recursion, 0
	.set _ZL27rocblas_axpy_kernel_batchedIiLi128ELi8EdPKdS1_PdEviT3_lT4_lT_lT5_lS5_li.has_indirect_call, 0
	.section	.AMDGPU.csdata,"",@progbits
; Kernel info:
; codeLenInByte = 976
; TotalNumSgprs: 27
; NumVgprs: 15
; ScratchSize: 0
; MemoryBound: 0
; FloatMode: 240
; IeeeMode: 1
; LDSByteSize: 0 bytes/workgroup (compile time only)
; SGPRBlocks: 3
; VGPRBlocks: 3
; NumSGPRsForWavesPerEU: 27
; NumVGPRsForWavesPerEU: 15
; Occupancy: 10
; WaveLimiterHint : 0
; COMPUTE_PGM_RSRC2:SCRATCH_EN: 0
; COMPUTE_PGM_RSRC2:USER_SGPR: 6
; COMPUTE_PGM_RSRC2:TRAP_HANDLER: 0
; COMPUTE_PGM_RSRC2:TGID_X_EN: 1
; COMPUTE_PGM_RSRC2:TGID_Y_EN: 0
; COMPUTE_PGM_RSRC2:TGID_Z_EN: 1
; COMPUTE_PGM_RSRC2:TIDIG_COMP_CNT: 1
	.section	.text._ZL27rocblas_axpy_kernel_batchedIiLi128ELi8EddPKdPdEviT3_lT4_lT_lT5_lS5_li,"axG",@progbits,_ZL27rocblas_axpy_kernel_batchedIiLi128ELi8EddPKdPdEviT3_lT4_lT_lT5_lS5_li,comdat
	.globl	_ZL27rocblas_axpy_kernel_batchedIiLi128ELi8EddPKdPdEviT3_lT4_lT_lT5_lS5_li ; -- Begin function _ZL27rocblas_axpy_kernel_batchedIiLi128ELi8EddPKdPdEviT3_lT4_lT_lT5_lS5_li
	.p2align	8
	.type	_ZL27rocblas_axpy_kernel_batchedIiLi128ELi8EddPKdPdEviT3_lT4_lT_lT5_lS5_li,@function
_ZL27rocblas_axpy_kernel_batchedIiLi128ELi8EddPKdPdEviT3_lT4_lT_lT5_lS5_li: ; @_ZL27rocblas_axpy_kernel_batchedIiLi128ELi8EddPKdPdEviT3_lT4_lT_lT5_lS5_li
; %bb.0:
	s_load_dword s0, s[4:5], 0x0
	v_lshl_add_u32 v2, s6, 7, v0
	v_mov_b32_e32 v3, 0
	s_waitcnt lgkmcnt(0)
	s_ashr_i32 s1, s0, 31
	v_cmp_gt_i64_e32 vcc, s[0:1], v[2:3]
	s_and_saveexec_b64 s[0:1], vcc
	s_cbranch_execz .LBB23_9
; %bb.1:
	s_load_dword s18, s[4:5], 0x28
	s_load_dwordx2 s[8:9], s[4:5], 0x8
	s_load_dwordx4 s[12:15], s[4:5], 0x18
	s_load_dwordx4 s[0:3], s[4:5], 0x30
	s_load_dwordx2 s[16:17], s[4:5], 0x40
	s_load_dword s20, s[4:5], 0x48
	s_load_dwordx2 s[10:11], s[4:5], 0x50
	s_load_dword s6, s[4:5], 0x58
	s_waitcnt lgkmcnt(0)
	v_mad_u64_u32 v[5:6], s[4:5], s18, v2, 0
	s_ashr_i32 s19, s18, 31
	v_mad_u64_u32 v[7:8], s[4:5], s20, v2, 0
	v_mov_b32_e32 v0, v6
	v_mad_u64_u32 v[3:4], s[4:5], s19, v2, v[0:1]
	s_ashr_i32 s18, s20, 31
	v_mov_b32_e32 v0, v8
	v_mad_u64_u32 v[8:9], s[4:5], s18, v2, v[0:1]
	v_lshlrev_b32_e32 v0, 2, v1
	v_mov_b32_e32 v6, v3
	s_lshl_b64 s[14:15], s[14:15], 3
	v_lshl_add_u32 v4, s7, 5, v0
	v_cmp_neq_f64_e64 s[4:5], s[8:9], 0
	s_add_u32 s7, s12, s14
	v_lshlrev_b64 v[0:1], 3, v[5:6]
	s_addc_u32 s12, s13, s15
	v_mov_b32_e32 v2, s12
	v_add_co_u32_e32 v0, vcc, s7, v0
	s_lshl_b64 s[12:13], s[16:17], 3
	v_addc_co_u32_e32 v1, vcc, v2, v1, vcc
	s_add_u32 s2, s2, s12
	v_lshlrev_b64 v[2:3], 3, v[7:8]
	s_addc_u32 s3, s3, s13
	v_mov_b32_e32 v5, s3
	v_add_co_u32_e32 v2, vcc, s2, v2
	v_addc_co_u32_e32 v3, vcc, v5, v3, vcc
	v_cmp_gt_u32_e32 vcc, s6, v4
	s_and_b64 s[12:13], s[4:5], vcc
	s_and_saveexec_b64 s[2:3], s[12:13]
	s_cbranch_execz .LBB23_3
; %bb.2:
	v_mad_u64_u32 v[5:6], s[12:13], s0, v4, 0
	v_mad_u64_u32 v[7:8], s[12:13], s10, v4, 0
	;; [unrolled: 1-line block ×3, first 2 shown]
	v_mov_b32_e32 v6, v9
	v_mad_u64_u32 v[8:9], s[12:13], s11, v4, v[8:9]
	v_lshlrev_b64 v[5:6], 3, v[5:6]
	v_add_co_u32_e32 v5, vcc, v0, v5
	v_lshlrev_b64 v[7:8], 3, v[7:8]
	v_addc_co_u32_e32 v6, vcc, v1, v6, vcc
	v_add_co_u32_e32 v7, vcc, v2, v7
	v_addc_co_u32_e32 v8, vcc, v3, v8, vcc
	global_load_dwordx2 v[9:10], v[7:8], off
	global_load_dwordx2 v[11:12], v[5:6], off
	s_waitcnt vmcnt(0)
	v_fma_f64 v[5:6], s[8:9], v[11:12], v[9:10]
	global_store_dwordx2 v[7:8], v[5:6], off
.LBB23_3:
	s_or_b64 exec, exec, s[2:3]
	v_or_b32_e32 v5, 1, v4
	v_cmp_gt_u32_e32 vcc, s6, v5
	s_and_b64 s[12:13], s[4:5], vcc
	s_and_saveexec_b64 s[2:3], s[12:13]
	s_cbranch_execz .LBB23_5
; %bb.4:
	v_mad_u64_u32 v[6:7], s[12:13], s0, v5, 0
	v_mad_u64_u32 v[8:9], s[12:13], s10, v5, 0
	;; [unrolled: 1-line block ×3, first 2 shown]
	v_mov_b32_e32 v7, v10
	v_mad_u64_u32 v[9:10], s[12:13], s11, v5, v[9:10]
	v_lshlrev_b64 v[6:7], 3, v[6:7]
	v_add_co_u32_e32 v5, vcc, v0, v6
	v_addc_co_u32_e32 v6, vcc, v1, v7, vcc
	v_lshlrev_b64 v[7:8], 3, v[8:9]
	v_add_co_u32_e32 v7, vcc, v2, v7
	v_addc_co_u32_e32 v8, vcc, v3, v8, vcc
	global_load_dwordx2 v[9:10], v[7:8], off
	global_load_dwordx2 v[11:12], v[5:6], off
	s_waitcnt vmcnt(0)
	v_fma_f64 v[5:6], s[8:9], v[11:12], v[9:10]
	global_store_dwordx2 v[7:8], v[5:6], off
.LBB23_5:
	s_or_b64 exec, exec, s[2:3]
	v_or_b32_e32 v5, 2, v4
	v_cmp_gt_u32_e32 vcc, s6, v5
	s_and_b64 s[12:13], s[4:5], vcc
	s_and_saveexec_b64 s[2:3], s[12:13]
	s_cbranch_execz .LBB23_7
; %bb.6:
	v_mad_u64_u32 v[6:7], s[12:13], s0, v5, 0
	v_mad_u64_u32 v[8:9], s[12:13], s10, v5, 0
	;; [unrolled: 1-line block ×3, first 2 shown]
	v_mov_b32_e32 v7, v10
	v_mad_u64_u32 v[9:10], s[12:13], s11, v5, v[9:10]
	v_lshlrev_b64 v[6:7], 3, v[6:7]
	v_add_co_u32_e32 v5, vcc, v0, v6
	v_addc_co_u32_e32 v6, vcc, v1, v7, vcc
	v_lshlrev_b64 v[7:8], 3, v[8:9]
	v_add_co_u32_e32 v7, vcc, v2, v7
	v_addc_co_u32_e32 v8, vcc, v3, v8, vcc
	global_load_dwordx2 v[9:10], v[7:8], off
	global_load_dwordx2 v[11:12], v[5:6], off
	s_waitcnt vmcnt(0)
	v_fma_f64 v[5:6], s[8:9], v[11:12], v[9:10]
	global_store_dwordx2 v[7:8], v[5:6], off
.LBB23_7:
	s_or_b64 exec, exec, s[2:3]
	v_or_b32_e32 v4, 3, v4
	v_cmp_gt_u32_e32 vcc, s6, v4
	s_and_b64 s[2:3], s[4:5], vcc
	s_and_b64 exec, exec, s[2:3]
	s_cbranch_execz .LBB23_9
; %bb.8:
	v_mad_u64_u32 v[5:6], s[2:3], s0, v4, 0
	v_mad_u64_u32 v[7:8], s[2:3], s10, v4, 0
	;; [unrolled: 1-line block ×3, first 2 shown]
	v_mov_b32_e32 v6, v9
	v_mad_u64_u32 v[8:9], s[0:1], s11, v4, v[8:9]
	v_lshlrev_b64 v[5:6], 3, v[5:6]
	v_add_co_u32_e32 v0, vcc, v0, v5
	v_lshlrev_b64 v[4:5], 3, v[7:8]
	v_addc_co_u32_e32 v1, vcc, v1, v6, vcc
	v_add_co_u32_e32 v2, vcc, v2, v4
	v_addc_co_u32_e32 v3, vcc, v3, v5, vcc
	global_load_dwordx2 v[4:5], v[2:3], off
	global_load_dwordx2 v[6:7], v[0:1], off
	s_waitcnt vmcnt(0)
	v_fma_f64 v[0:1], s[8:9], v[6:7], v[4:5]
	global_store_dwordx2 v[2:3], v[0:1], off
.LBB23_9:
	s_endpgm
	.section	.rodata,"a",@progbits
	.p2align	6, 0x0
	.amdhsa_kernel _ZL27rocblas_axpy_kernel_batchedIiLi128ELi8EddPKdPdEviT3_lT4_lT_lT5_lS5_li
		.amdhsa_group_segment_fixed_size 0
		.amdhsa_private_segment_fixed_size 0
		.amdhsa_kernarg_size 92
		.amdhsa_user_sgpr_count 6
		.amdhsa_user_sgpr_private_segment_buffer 1
		.amdhsa_user_sgpr_dispatch_ptr 0
		.amdhsa_user_sgpr_queue_ptr 0
		.amdhsa_user_sgpr_kernarg_segment_ptr 1
		.amdhsa_user_sgpr_dispatch_id 0
		.amdhsa_user_sgpr_flat_scratch_init 0
		.amdhsa_user_sgpr_private_segment_size 0
		.amdhsa_uses_dynamic_stack 0
		.amdhsa_system_sgpr_private_segment_wavefront_offset 0
		.amdhsa_system_sgpr_workgroup_id_x 1
		.amdhsa_system_sgpr_workgroup_id_y 0
		.amdhsa_system_sgpr_workgroup_id_z 1
		.amdhsa_system_sgpr_workgroup_info 0
		.amdhsa_system_vgpr_workitem_id 1
		.amdhsa_next_free_vgpr 13
		.amdhsa_next_free_sgpr 21
		.amdhsa_reserve_vcc 1
		.amdhsa_reserve_flat_scratch 0
		.amdhsa_float_round_mode_32 0
		.amdhsa_float_round_mode_16_64 0
		.amdhsa_float_denorm_mode_32 3
		.amdhsa_float_denorm_mode_16_64 3
		.amdhsa_dx10_clamp 1
		.amdhsa_ieee_mode 1
		.amdhsa_fp16_overflow 0
		.amdhsa_exception_fp_ieee_invalid_op 0
		.amdhsa_exception_fp_denorm_src 0
		.amdhsa_exception_fp_ieee_div_zero 0
		.amdhsa_exception_fp_ieee_overflow 0
		.amdhsa_exception_fp_ieee_underflow 0
		.amdhsa_exception_fp_ieee_inexact 0
		.amdhsa_exception_int_div_zero 0
	.end_amdhsa_kernel
	.section	.text._ZL27rocblas_axpy_kernel_batchedIiLi128ELi8EddPKdPdEviT3_lT4_lT_lT5_lS5_li,"axG",@progbits,_ZL27rocblas_axpy_kernel_batchedIiLi128ELi8EddPKdPdEviT3_lT4_lT_lT5_lS5_li,comdat
.Lfunc_end23:
	.size	_ZL27rocblas_axpy_kernel_batchedIiLi128ELi8EddPKdPdEviT3_lT4_lT_lT5_lS5_li, .Lfunc_end23-_ZL27rocblas_axpy_kernel_batchedIiLi128ELi8EddPKdPdEviT3_lT4_lT_lT5_lS5_li
                                        ; -- End function
	.set _ZL27rocblas_axpy_kernel_batchedIiLi128ELi8EddPKdPdEviT3_lT4_lT_lT5_lS5_li.num_vgpr, 13
	.set _ZL27rocblas_axpy_kernel_batchedIiLi128ELi8EddPKdPdEviT3_lT4_lT_lT5_lS5_li.num_agpr, 0
	.set _ZL27rocblas_axpy_kernel_batchedIiLi128ELi8EddPKdPdEviT3_lT4_lT_lT5_lS5_li.numbered_sgpr, 21
	.set _ZL27rocblas_axpy_kernel_batchedIiLi128ELi8EddPKdPdEviT3_lT4_lT_lT5_lS5_li.num_named_barrier, 0
	.set _ZL27rocblas_axpy_kernel_batchedIiLi128ELi8EddPKdPdEviT3_lT4_lT_lT5_lS5_li.private_seg_size, 0
	.set _ZL27rocblas_axpy_kernel_batchedIiLi128ELi8EddPKdPdEviT3_lT4_lT_lT5_lS5_li.uses_vcc, 1
	.set _ZL27rocblas_axpy_kernel_batchedIiLi128ELi8EddPKdPdEviT3_lT4_lT_lT5_lS5_li.uses_flat_scratch, 0
	.set _ZL27rocblas_axpy_kernel_batchedIiLi128ELi8EddPKdPdEviT3_lT4_lT_lT5_lS5_li.has_dyn_sized_stack, 0
	.set _ZL27rocblas_axpy_kernel_batchedIiLi128ELi8EddPKdPdEviT3_lT4_lT_lT5_lS5_li.has_recursion, 0
	.set _ZL27rocblas_axpy_kernel_batchedIiLi128ELi8EddPKdPdEviT3_lT4_lT_lT5_lS5_li.has_indirect_call, 0
	.section	.AMDGPU.csdata,"",@progbits
; Kernel info:
; codeLenInByte = 752
; TotalNumSgprs: 25
; NumVgprs: 13
; ScratchSize: 0
; MemoryBound: 0
; FloatMode: 240
; IeeeMode: 1
; LDSByteSize: 0 bytes/workgroup (compile time only)
; SGPRBlocks: 3
; VGPRBlocks: 3
; NumSGPRsForWavesPerEU: 25
; NumVGPRsForWavesPerEU: 13
; Occupancy: 10
; WaveLimiterHint : 0
; COMPUTE_PGM_RSRC2:SCRATCH_EN: 0
; COMPUTE_PGM_RSRC2:USER_SGPR: 6
; COMPUTE_PGM_RSRC2:TRAP_HANDLER: 0
; COMPUTE_PGM_RSRC2:TGID_X_EN: 1
; COMPUTE_PGM_RSRC2:TGID_Y_EN: 0
; COMPUTE_PGM_RSRC2:TGID_Z_EN: 1
; COMPUTE_PGM_RSRC2:TIDIG_COMP_CNT: 1
	.section	.text._ZL19rocblas_axpy_kernelIiLi256EdPKdS1_PdEviT2_lT3_lT_lT4_lS5_li,"axG",@progbits,_ZL19rocblas_axpy_kernelIiLi256EdPKdS1_PdEviT2_lT3_lT_lT4_lS5_li,comdat
	.globl	_ZL19rocblas_axpy_kernelIiLi256EdPKdS1_PdEviT2_lT3_lT_lT4_lS5_li ; -- Begin function _ZL19rocblas_axpy_kernelIiLi256EdPKdS1_PdEviT2_lT3_lT_lT4_lS5_li
	.p2align	8
	.type	_ZL19rocblas_axpy_kernelIiLi256EdPKdS1_PdEviT2_lT3_lT_lT4_lS5_li,@function
_ZL19rocblas_axpy_kernelIiLi256EdPKdS1_PdEviT2_lT3_lT_lT4_lS5_li: ; @_ZL19rocblas_axpy_kernelIiLi256EdPKdS1_PdEviT2_lT3_lT_lT4_lS5_li
; %bb.0:
	s_load_dword s10, s[4:5], 0x0
	s_load_dwordx4 s[0:3], s[4:5], 0x8
	v_lshl_or_b32 v0, s6, 8, v0
	v_mov_b32_e32 v1, 0
	s_waitcnt lgkmcnt(0)
	s_ashr_i32 s11, s10, 31
	s_mul_i32 s3, s3, s7
	s_mul_hi_u32 s8, s2, s7
	s_add_i32 s3, s8, s3
	s_mul_i32 s2, s2, s7
	s_lshl_b64 s[2:3], s[2:3], 3
	s_add_u32 s0, s0, s2
	s_addc_u32 s1, s1, s3
	s_load_dwordx2 s[8:9], s[0:1], 0x0
	v_cmp_gt_i64_e32 vcc, s[10:11], v[0:1]
	s_waitcnt lgkmcnt(0)
	v_cmp_neq_f64_e64 s[0:1], s[8:9], 0
	s_and_b64 s[0:1], vcc, s[0:1]
	s_and_saveexec_b64 s[2:3], s[0:1]
	s_cbranch_execz .LBB24_2
; %bb.1:
	s_load_dword s6, s[4:5], 0x28
	s_load_dwordx4 s[12:15], s[4:5], 0x18
	s_waitcnt lgkmcnt(0)
	v_mad_u64_u32 v[1:2], s[0:1], s6, v0, 0
	s_load_dwordx4 s[0:3], s[4:5], 0x30
	s_load_dwordx2 s[10:11], s[4:5], 0x40
	s_load_dword s18, s[4:5], 0x48
	s_ashr_i32 s6, s6, 31
	v_mad_u64_u32 v[2:3], s[16:17], s6, v0, v[2:3]
	s_waitcnt lgkmcnt(0)
	s_mul_i32 s1, s1, s7
	s_mul_hi_u32 s16, s0, s7
	s_add_i32 s1, s16, s1
	s_mul_i32 s0, s0, s7
	s_ashr_i32 s6, s18, 31
	s_lshl_b64 s[0:1], s[0:1], 3
	s_add_u32 s12, s12, s0
	s_addc_u32 s16, s13, s1
	s_lshl_b64 s[0:1], s[14:15], 3
	s_load_dwordx2 s[4:5], s[4:5], 0x50
	s_add_u32 s14, s12, s0
	v_mad_u64_u32 v[3:4], s[12:13], s18, v0, 0
	s_addc_u32 s0, s16, s1
	v_mov_b32_e32 v6, s0
	v_mad_u64_u32 v[4:5], s[0:1], s6, v0, v[4:5]
	s_waitcnt lgkmcnt(0)
	s_mul_i32 s0, s5, s7
	s_mul_hi_u32 s1, s4, s7
	s_add_i32 s1, s1, s0
	s_mul_i32 s0, s4, s7
	v_lshlrev_b64 v[1:2], 3, v[1:2]
	s_lshl_b64 s[0:1], s[0:1], 3
	s_add_u32 s2, s2, s0
	v_add_co_u32_e32 v0, vcc, s14, v1
	s_addc_u32 s3, s3, s1
	s_lshl_b64 s[0:1], s[10:11], 3
	v_addc_co_u32_e32 v1, vcc, v6, v2, vcc
	s_add_u32 s0, s2, s0
	v_lshlrev_b64 v[2:3], 3, v[3:4]
	s_addc_u32 s1, s3, s1
	v_mov_b32_e32 v4, s1
	v_add_co_u32_e32 v2, vcc, s0, v2
	v_addc_co_u32_e32 v3, vcc, v4, v3, vcc
	global_load_dwordx2 v[4:5], v[2:3], off
	global_load_dwordx2 v[6:7], v[0:1], off
	s_waitcnt vmcnt(0)
	v_fma_f64 v[0:1], s[8:9], v[6:7], v[4:5]
	global_store_dwordx2 v[2:3], v[0:1], off
.LBB24_2:
	s_endpgm
	.section	.rodata,"a",@progbits
	.p2align	6, 0x0
	.amdhsa_kernel _ZL19rocblas_axpy_kernelIiLi256EdPKdS1_PdEviT2_lT3_lT_lT4_lS5_li
		.amdhsa_group_segment_fixed_size 0
		.amdhsa_private_segment_fixed_size 0
		.amdhsa_kernarg_size 92
		.amdhsa_user_sgpr_count 6
		.amdhsa_user_sgpr_private_segment_buffer 1
		.amdhsa_user_sgpr_dispatch_ptr 0
		.amdhsa_user_sgpr_queue_ptr 0
		.amdhsa_user_sgpr_kernarg_segment_ptr 1
		.amdhsa_user_sgpr_dispatch_id 0
		.amdhsa_user_sgpr_flat_scratch_init 0
		.amdhsa_user_sgpr_private_segment_size 0
		.amdhsa_uses_dynamic_stack 0
		.amdhsa_system_sgpr_private_segment_wavefront_offset 0
		.amdhsa_system_sgpr_workgroup_id_x 1
		.amdhsa_system_sgpr_workgroup_id_y 0
		.amdhsa_system_sgpr_workgroup_id_z 1
		.amdhsa_system_sgpr_workgroup_info 0
		.amdhsa_system_vgpr_workitem_id 0
		.amdhsa_next_free_vgpr 8
		.amdhsa_next_free_sgpr 19
		.amdhsa_reserve_vcc 1
		.amdhsa_reserve_flat_scratch 0
		.amdhsa_float_round_mode_32 0
		.amdhsa_float_round_mode_16_64 0
		.amdhsa_float_denorm_mode_32 3
		.amdhsa_float_denorm_mode_16_64 3
		.amdhsa_dx10_clamp 1
		.amdhsa_ieee_mode 1
		.amdhsa_fp16_overflow 0
		.amdhsa_exception_fp_ieee_invalid_op 0
		.amdhsa_exception_fp_denorm_src 0
		.amdhsa_exception_fp_ieee_div_zero 0
		.amdhsa_exception_fp_ieee_overflow 0
		.amdhsa_exception_fp_ieee_underflow 0
		.amdhsa_exception_fp_ieee_inexact 0
		.amdhsa_exception_int_div_zero 0
	.end_amdhsa_kernel
	.section	.text._ZL19rocblas_axpy_kernelIiLi256EdPKdS1_PdEviT2_lT3_lT_lT4_lS5_li,"axG",@progbits,_ZL19rocblas_axpy_kernelIiLi256EdPKdS1_PdEviT2_lT3_lT_lT4_lS5_li,comdat
.Lfunc_end24:
	.size	_ZL19rocblas_axpy_kernelIiLi256EdPKdS1_PdEviT2_lT3_lT_lT4_lS5_li, .Lfunc_end24-_ZL19rocblas_axpy_kernelIiLi256EdPKdS1_PdEviT2_lT3_lT_lT4_lS5_li
                                        ; -- End function
	.set _ZL19rocblas_axpy_kernelIiLi256EdPKdS1_PdEviT2_lT3_lT_lT4_lS5_li.num_vgpr, 8
	.set _ZL19rocblas_axpy_kernelIiLi256EdPKdS1_PdEviT2_lT3_lT_lT4_lS5_li.num_agpr, 0
	.set _ZL19rocblas_axpy_kernelIiLi256EdPKdS1_PdEviT2_lT3_lT_lT4_lS5_li.numbered_sgpr, 19
	.set _ZL19rocblas_axpy_kernelIiLi256EdPKdS1_PdEviT2_lT3_lT_lT4_lS5_li.num_named_barrier, 0
	.set _ZL19rocblas_axpy_kernelIiLi256EdPKdS1_PdEviT2_lT3_lT_lT4_lS5_li.private_seg_size, 0
	.set _ZL19rocblas_axpy_kernelIiLi256EdPKdS1_PdEviT2_lT3_lT_lT4_lS5_li.uses_vcc, 1
	.set _ZL19rocblas_axpy_kernelIiLi256EdPKdS1_PdEviT2_lT3_lT_lT4_lS5_li.uses_flat_scratch, 0
	.set _ZL19rocblas_axpy_kernelIiLi256EdPKdS1_PdEviT2_lT3_lT_lT4_lS5_li.has_dyn_sized_stack, 0
	.set _ZL19rocblas_axpy_kernelIiLi256EdPKdS1_PdEviT2_lT3_lT_lT4_lS5_li.has_recursion, 0
	.set _ZL19rocblas_axpy_kernelIiLi256EdPKdS1_PdEviT2_lT3_lT_lT4_lS5_li.has_indirect_call, 0
	.section	.AMDGPU.csdata,"",@progbits
; Kernel info:
; codeLenInByte = 360
; TotalNumSgprs: 23
; NumVgprs: 8
; ScratchSize: 0
; MemoryBound: 0
; FloatMode: 240
; IeeeMode: 1
; LDSByteSize: 0 bytes/workgroup (compile time only)
; SGPRBlocks: 2
; VGPRBlocks: 1
; NumSGPRsForWavesPerEU: 23
; NumVGPRsForWavesPerEU: 8
; Occupancy: 10
; WaveLimiterHint : 0
; COMPUTE_PGM_RSRC2:SCRATCH_EN: 0
; COMPUTE_PGM_RSRC2:USER_SGPR: 6
; COMPUTE_PGM_RSRC2:TRAP_HANDLER: 0
; COMPUTE_PGM_RSRC2:TGID_X_EN: 1
; COMPUTE_PGM_RSRC2:TGID_Y_EN: 0
; COMPUTE_PGM_RSRC2:TGID_Z_EN: 1
; COMPUTE_PGM_RSRC2:TIDIG_COMP_CNT: 0
	.section	.text._ZL19rocblas_axpy_kernelIiLi256EddPKdPdEviT2_lT3_lT_lT4_lS5_li,"axG",@progbits,_ZL19rocblas_axpy_kernelIiLi256EddPKdPdEviT2_lT3_lT_lT4_lS5_li,comdat
	.globl	_ZL19rocblas_axpy_kernelIiLi256EddPKdPdEviT2_lT3_lT_lT4_lS5_li ; -- Begin function _ZL19rocblas_axpy_kernelIiLi256EddPKdPdEviT2_lT3_lT_lT4_lS5_li
	.p2align	8
	.type	_ZL19rocblas_axpy_kernelIiLi256EddPKdPdEviT2_lT3_lT_lT4_lS5_li,@function
_ZL19rocblas_axpy_kernelIiLi256EddPKdPdEviT2_lT3_lT_lT4_lS5_li: ; @_ZL19rocblas_axpy_kernelIiLi256EddPKdPdEviT2_lT3_lT_lT4_lS5_li
; %bb.0:
	s_load_dwordx2 s[8:9], s[4:5], 0x8
	s_load_dword s0, s[4:5], 0x0
	v_lshl_or_b32 v0, s6, 8, v0
	v_mov_b32_e32 v1, 0
	s_waitcnt lgkmcnt(0)
	v_cmp_neq_f64_e64 s[2:3], s[8:9], 0
	s_ashr_i32 s1, s0, 31
	v_cmp_gt_i64_e32 vcc, s[0:1], v[0:1]
	s_and_b64 s[0:1], s[2:3], vcc
	s_and_saveexec_b64 s[2:3], s[0:1]
	s_cbranch_execz .LBB25_2
; %bb.1:
	s_load_dword s6, s[4:5], 0x28
	s_load_dwordx4 s[12:15], s[4:5], 0x18
	s_waitcnt lgkmcnt(0)
	v_mad_u64_u32 v[1:2], s[0:1], s6, v0, 0
	s_load_dwordx4 s[0:3], s[4:5], 0x30
	s_load_dwordx2 s[10:11], s[4:5], 0x40
	s_load_dword s18, s[4:5], 0x48
	s_ashr_i32 s6, s6, 31
	v_mad_u64_u32 v[2:3], s[16:17], s6, v0, v[2:3]
	s_waitcnt lgkmcnt(0)
	s_mul_i32 s1, s1, s7
	s_mul_hi_u32 s16, s0, s7
	s_add_i32 s1, s16, s1
	s_mul_i32 s0, s0, s7
	s_ashr_i32 s6, s18, 31
	s_lshl_b64 s[0:1], s[0:1], 3
	s_add_u32 s12, s12, s0
	s_addc_u32 s16, s13, s1
	s_lshl_b64 s[0:1], s[14:15], 3
	s_load_dwordx2 s[4:5], s[4:5], 0x50
	s_add_u32 s14, s12, s0
	v_mad_u64_u32 v[3:4], s[12:13], s18, v0, 0
	s_addc_u32 s0, s16, s1
	v_mov_b32_e32 v6, s0
	v_mad_u64_u32 v[4:5], s[0:1], s6, v0, v[4:5]
	s_waitcnt lgkmcnt(0)
	s_mul_i32 s0, s5, s7
	s_mul_hi_u32 s1, s4, s7
	s_add_i32 s1, s1, s0
	s_mul_i32 s0, s4, s7
	v_lshlrev_b64 v[1:2], 3, v[1:2]
	s_lshl_b64 s[0:1], s[0:1], 3
	s_add_u32 s2, s2, s0
	v_add_co_u32_e32 v0, vcc, s14, v1
	s_addc_u32 s3, s3, s1
	s_lshl_b64 s[0:1], s[10:11], 3
	v_addc_co_u32_e32 v1, vcc, v6, v2, vcc
	s_add_u32 s0, s2, s0
	v_lshlrev_b64 v[2:3], 3, v[3:4]
	s_addc_u32 s1, s3, s1
	v_mov_b32_e32 v4, s1
	v_add_co_u32_e32 v2, vcc, s0, v2
	v_addc_co_u32_e32 v3, vcc, v4, v3, vcc
	global_load_dwordx2 v[4:5], v[2:3], off
	global_load_dwordx2 v[6:7], v[0:1], off
	s_waitcnt vmcnt(0)
	v_fma_f64 v[0:1], s[8:9], v[6:7], v[4:5]
	global_store_dwordx2 v[2:3], v[0:1], off
.LBB25_2:
	s_endpgm
	.section	.rodata,"a",@progbits
	.p2align	6, 0x0
	.amdhsa_kernel _ZL19rocblas_axpy_kernelIiLi256EddPKdPdEviT2_lT3_lT_lT4_lS5_li
		.amdhsa_group_segment_fixed_size 0
		.amdhsa_private_segment_fixed_size 0
		.amdhsa_kernarg_size 92
		.amdhsa_user_sgpr_count 6
		.amdhsa_user_sgpr_private_segment_buffer 1
		.amdhsa_user_sgpr_dispatch_ptr 0
		.amdhsa_user_sgpr_queue_ptr 0
		.amdhsa_user_sgpr_kernarg_segment_ptr 1
		.amdhsa_user_sgpr_dispatch_id 0
		.amdhsa_user_sgpr_flat_scratch_init 0
		.amdhsa_user_sgpr_private_segment_size 0
		.amdhsa_uses_dynamic_stack 0
		.amdhsa_system_sgpr_private_segment_wavefront_offset 0
		.amdhsa_system_sgpr_workgroup_id_x 1
		.amdhsa_system_sgpr_workgroup_id_y 0
		.amdhsa_system_sgpr_workgroup_id_z 1
		.amdhsa_system_sgpr_workgroup_info 0
		.amdhsa_system_vgpr_workitem_id 0
		.amdhsa_next_free_vgpr 8
		.amdhsa_next_free_sgpr 19
		.amdhsa_reserve_vcc 1
		.amdhsa_reserve_flat_scratch 0
		.amdhsa_float_round_mode_32 0
		.amdhsa_float_round_mode_16_64 0
		.amdhsa_float_denorm_mode_32 3
		.amdhsa_float_denorm_mode_16_64 3
		.amdhsa_dx10_clamp 1
		.amdhsa_ieee_mode 1
		.amdhsa_fp16_overflow 0
		.amdhsa_exception_fp_ieee_invalid_op 0
		.amdhsa_exception_fp_denorm_src 0
		.amdhsa_exception_fp_ieee_div_zero 0
		.amdhsa_exception_fp_ieee_overflow 0
		.amdhsa_exception_fp_ieee_underflow 0
		.amdhsa_exception_fp_ieee_inexact 0
		.amdhsa_exception_int_div_zero 0
	.end_amdhsa_kernel
	.section	.text._ZL19rocblas_axpy_kernelIiLi256EddPKdPdEviT2_lT3_lT_lT4_lS5_li,"axG",@progbits,_ZL19rocblas_axpy_kernelIiLi256EddPKdPdEviT2_lT3_lT_lT4_lS5_li,comdat
.Lfunc_end25:
	.size	_ZL19rocblas_axpy_kernelIiLi256EddPKdPdEviT2_lT3_lT_lT4_lS5_li, .Lfunc_end25-_ZL19rocblas_axpy_kernelIiLi256EddPKdPdEviT2_lT3_lT_lT4_lS5_li
                                        ; -- End function
	.set _ZL19rocblas_axpy_kernelIiLi256EddPKdPdEviT2_lT3_lT_lT4_lS5_li.num_vgpr, 8
	.set _ZL19rocblas_axpy_kernelIiLi256EddPKdPdEviT2_lT3_lT_lT4_lS5_li.num_agpr, 0
	.set _ZL19rocblas_axpy_kernelIiLi256EddPKdPdEviT2_lT3_lT_lT4_lS5_li.numbered_sgpr, 19
	.set _ZL19rocblas_axpy_kernelIiLi256EddPKdPdEviT2_lT3_lT_lT4_lS5_li.num_named_barrier, 0
	.set _ZL19rocblas_axpy_kernelIiLi256EddPKdPdEviT2_lT3_lT_lT4_lS5_li.private_seg_size, 0
	.set _ZL19rocblas_axpy_kernelIiLi256EddPKdPdEviT2_lT3_lT_lT4_lS5_li.uses_vcc, 1
	.set _ZL19rocblas_axpy_kernelIiLi256EddPKdPdEviT2_lT3_lT_lT4_lS5_li.uses_flat_scratch, 0
	.set _ZL19rocblas_axpy_kernelIiLi256EddPKdPdEviT2_lT3_lT_lT4_lS5_li.has_dyn_sized_stack, 0
	.set _ZL19rocblas_axpy_kernelIiLi256EddPKdPdEviT2_lT3_lT_lT4_lS5_li.has_recursion, 0
	.set _ZL19rocblas_axpy_kernelIiLi256EddPKdPdEviT2_lT3_lT_lT4_lS5_li.has_indirect_call, 0
	.section	.AMDGPU.csdata,"",@progbits
; Kernel info:
; codeLenInByte = 320
; TotalNumSgprs: 23
; NumVgprs: 8
; ScratchSize: 0
; MemoryBound: 0
; FloatMode: 240
; IeeeMode: 1
; LDSByteSize: 0 bytes/workgroup (compile time only)
; SGPRBlocks: 2
; VGPRBlocks: 1
; NumSGPRsForWavesPerEU: 23
; NumVGPRsForWavesPerEU: 8
; Occupancy: 10
; WaveLimiterHint : 0
; COMPUTE_PGM_RSRC2:SCRATCH_EN: 0
; COMPUTE_PGM_RSRC2:USER_SGPR: 6
; COMPUTE_PGM_RSRC2:TRAP_HANDLER: 0
; COMPUTE_PGM_RSRC2:TGID_X_EN: 1
; COMPUTE_PGM_RSRC2:TGID_Y_EN: 0
; COMPUTE_PGM_RSRC2:TGID_Z_EN: 1
; COMPUTE_PGM_RSRC2:TIDIG_COMP_CNT: 0
	.section	.text._ZL26rocblas_haxpy_mlt_8_kernelILi256EPKDF16_PK19rocblas_complex_numIfEPS3_EviT0_lT1_llT2_lli,"axG",@progbits,_ZL26rocblas_haxpy_mlt_8_kernelILi256EPKDF16_PK19rocblas_complex_numIfEPS3_EviT0_lT1_llT2_lli,comdat
	.globl	_ZL26rocblas_haxpy_mlt_8_kernelILi256EPKDF16_PK19rocblas_complex_numIfEPS3_EviT0_lT1_llT2_lli ; -- Begin function _ZL26rocblas_haxpy_mlt_8_kernelILi256EPKDF16_PK19rocblas_complex_numIfEPS3_EviT0_lT1_llT2_lli
	.p2align	8
	.type	_ZL26rocblas_haxpy_mlt_8_kernelILi256EPKDF16_PK19rocblas_complex_numIfEPS3_EviT0_lT1_llT2_lli,@function
_ZL26rocblas_haxpy_mlt_8_kernelILi256EPKDF16_PK19rocblas_complex_numIfEPS3_EviT0_lT1_llT2_lli: ; @_ZL26rocblas_haxpy_mlt_8_kernelILi256EPKDF16_PK19rocblas_complex_numIfEPS3_EviT0_lT1_llT2_lli
; %bb.0:
	s_load_dwordx16 s[8:23], s[4:5], 0x8
	v_mov_b32_e32 v1, 0
	s_waitcnt lgkmcnt(0)
	s_mul_i32 s0, s11, s7
	s_mul_hi_u32 s1, s10, s7
	s_add_i32 s1, s1, s0
	s_mul_i32 s0, s10, s7
	s_lshl_b64 s[0:1], s[0:1], 1
	s_add_u32 s0, s8, s0
	s_addc_u32 s1, s9, s1
	global_load_ushort v2, v1, s[0:1]
	s_waitcnt vmcnt(0)
	v_and_b32_e32 v3, 0xffff, v2
	v_lshl_or_b32 v3, v2, 16, v3
	v_and_b32_e32 v3, 0x7fff, v3
	v_cmp_eq_u32_e32 vcc, 0, v3
	s_cbranch_vccnz .LBB26_3
; %bb.1:
	s_load_dword s0, s[4:5], 0x0
	v_lshl_or_b32 v0, s6, 8, v0
	v_lshlrev_b64 v[0:1], 3, v[0:1]
	s_waitcnt lgkmcnt(0)
	s_ashr_i32 s1, s0, 31
	v_cmp_gt_i64_e32 vcc, s[0:1], v[0:1]
	s_and_saveexec_b64 s[0:1], vcc
	s_cbranch_execz .LBB26_3
; %bb.2:
	s_mul_i32 s0, s17, s7
	s_mul_hi_u32 s1, s16, s7
	s_add_i32 s1, s1, s0
	s_mul_i32 s0, s16, s7
	s_lshl_b64 s[0:1], s[0:1], 3
	s_add_u32 s2, s12, s0
	s_addc_u32 s3, s13, s1
	s_lshl_b64 s[0:1], s[14:15], 3
	s_add_u32 s0, s2, s0
	v_lshlrev_b64 v[0:1], 3, v[0:1]
	s_addc_u32 s1, s3, s1
	v_mov_b32_e32 v3, s1
	v_add_co_u32_e32 v11, vcc, s0, v0
	s_mul_i32 s0, s23, s7
	s_mul_hi_u32 s1, s22, s7
	s_add_i32 s1, s1, s0
	s_mul_i32 s0, s22, s7
	s_lshl_b64 s[0:1], s[0:1], 3
	s_add_u32 s2, s18, s0
	s_addc_u32 s3, s19, s1
	s_lshl_b64 s[0:1], s[20:21], 3
	s_add_u32 s0, s2, s0
	v_addc_co_u32_e32 v12, vcc, v3, v1, vcc
	s_addc_u32 s1, s3, s1
	v_mov_b32_e32 v3, s1
	v_add_co_u32_e32 v0, vcc, s0, v0
	v_addc_co_u32_e32 v1, vcc, v3, v1, vcc
	global_load_dwordx4 v[3:6], v[11:12], off
	global_load_dwordx4 v[7:10], v[0:1], off
	s_waitcnt vmcnt(0)
	v_pk_fma_f16 v6, v2, v6, v10 op_sel_hi:[0,1,1]
	v_pk_fma_f16 v5, v2, v5, v9 op_sel_hi:[0,1,1]
	v_pk_fma_f16 v4, v2, v4, v8 op_sel_hi:[0,1,1]
	v_pk_fma_f16 v3, v2, v3, v7 op_sel_hi:[0,1,1]
	global_store_dwordx4 v[0:1], v[3:6], off
.LBB26_3:
	s_endpgm
	.section	.rodata,"a",@progbits
	.p2align	6, 0x0
	.amdhsa_kernel _ZL26rocblas_haxpy_mlt_8_kernelILi256EPKDF16_PK19rocblas_complex_numIfEPS3_EviT0_lT1_llT2_lli
		.amdhsa_group_segment_fixed_size 0
		.amdhsa_private_segment_fixed_size 0
		.amdhsa_kernarg_size 76
		.amdhsa_user_sgpr_count 6
		.amdhsa_user_sgpr_private_segment_buffer 1
		.amdhsa_user_sgpr_dispatch_ptr 0
		.amdhsa_user_sgpr_queue_ptr 0
		.amdhsa_user_sgpr_kernarg_segment_ptr 1
		.amdhsa_user_sgpr_dispatch_id 0
		.amdhsa_user_sgpr_flat_scratch_init 0
		.amdhsa_user_sgpr_private_segment_size 0
		.amdhsa_uses_dynamic_stack 0
		.amdhsa_system_sgpr_private_segment_wavefront_offset 0
		.amdhsa_system_sgpr_workgroup_id_x 1
		.amdhsa_system_sgpr_workgroup_id_y 0
		.amdhsa_system_sgpr_workgroup_id_z 1
		.amdhsa_system_sgpr_workgroup_info 0
		.amdhsa_system_vgpr_workitem_id 0
		.amdhsa_next_free_vgpr 13
		.amdhsa_next_free_sgpr 24
		.amdhsa_reserve_vcc 1
		.amdhsa_reserve_flat_scratch 0
		.amdhsa_float_round_mode_32 0
		.amdhsa_float_round_mode_16_64 0
		.amdhsa_float_denorm_mode_32 3
		.amdhsa_float_denorm_mode_16_64 3
		.amdhsa_dx10_clamp 1
		.amdhsa_ieee_mode 1
		.amdhsa_fp16_overflow 0
		.amdhsa_exception_fp_ieee_invalid_op 0
		.amdhsa_exception_fp_denorm_src 0
		.amdhsa_exception_fp_ieee_div_zero 0
		.amdhsa_exception_fp_ieee_overflow 0
		.amdhsa_exception_fp_ieee_underflow 0
		.amdhsa_exception_fp_ieee_inexact 0
		.amdhsa_exception_int_div_zero 0
	.end_amdhsa_kernel
	.section	.text._ZL26rocblas_haxpy_mlt_8_kernelILi256EPKDF16_PK19rocblas_complex_numIfEPS3_EviT0_lT1_llT2_lli,"axG",@progbits,_ZL26rocblas_haxpy_mlt_8_kernelILi256EPKDF16_PK19rocblas_complex_numIfEPS3_EviT0_lT1_llT2_lli,comdat
.Lfunc_end26:
	.size	_ZL26rocblas_haxpy_mlt_8_kernelILi256EPKDF16_PK19rocblas_complex_numIfEPS3_EviT0_lT1_llT2_lli, .Lfunc_end26-_ZL26rocblas_haxpy_mlt_8_kernelILi256EPKDF16_PK19rocblas_complex_numIfEPS3_EviT0_lT1_llT2_lli
                                        ; -- End function
	.set _ZL26rocblas_haxpy_mlt_8_kernelILi256EPKDF16_PK19rocblas_complex_numIfEPS3_EviT0_lT1_llT2_lli.num_vgpr, 13
	.set _ZL26rocblas_haxpy_mlt_8_kernelILi256EPKDF16_PK19rocblas_complex_numIfEPS3_EviT0_lT1_llT2_lli.num_agpr, 0
	.set _ZL26rocblas_haxpy_mlt_8_kernelILi256EPKDF16_PK19rocblas_complex_numIfEPS3_EviT0_lT1_llT2_lli.numbered_sgpr, 24
	.set _ZL26rocblas_haxpy_mlt_8_kernelILi256EPKDF16_PK19rocblas_complex_numIfEPS3_EviT0_lT1_llT2_lli.num_named_barrier, 0
	.set _ZL26rocblas_haxpy_mlt_8_kernelILi256EPKDF16_PK19rocblas_complex_numIfEPS3_EviT0_lT1_llT2_lli.private_seg_size, 0
	.set _ZL26rocblas_haxpy_mlt_8_kernelILi256EPKDF16_PK19rocblas_complex_numIfEPS3_EviT0_lT1_llT2_lli.uses_vcc, 1
	.set _ZL26rocblas_haxpy_mlt_8_kernelILi256EPKDF16_PK19rocblas_complex_numIfEPS3_EviT0_lT1_llT2_lli.uses_flat_scratch, 0
	.set _ZL26rocblas_haxpy_mlt_8_kernelILi256EPKDF16_PK19rocblas_complex_numIfEPS3_EviT0_lT1_llT2_lli.has_dyn_sized_stack, 0
	.set _ZL26rocblas_haxpy_mlt_8_kernelILi256EPKDF16_PK19rocblas_complex_numIfEPS3_EviT0_lT1_llT2_lli.has_recursion, 0
	.set _ZL26rocblas_haxpy_mlt_8_kernelILi256EPKDF16_PK19rocblas_complex_numIfEPS3_EviT0_lT1_llT2_lli.has_indirect_call, 0
	.section	.AMDGPU.csdata,"",@progbits
; Kernel info:
; codeLenInByte = 308
; TotalNumSgprs: 28
; NumVgprs: 13
; ScratchSize: 0
; MemoryBound: 0
; FloatMode: 240
; IeeeMode: 1
; LDSByteSize: 0 bytes/workgroup (compile time only)
; SGPRBlocks: 3
; VGPRBlocks: 3
; NumSGPRsForWavesPerEU: 28
; NumVGPRsForWavesPerEU: 13
; Occupancy: 10
; WaveLimiterHint : 0
; COMPUTE_PGM_RSRC2:SCRATCH_EN: 0
; COMPUTE_PGM_RSRC2:USER_SGPR: 6
; COMPUTE_PGM_RSRC2:TRAP_HANDLER: 0
; COMPUTE_PGM_RSRC2:TGID_X_EN: 1
; COMPUTE_PGM_RSRC2:TGID_Y_EN: 0
; COMPUTE_PGM_RSRC2:TGID_Z_EN: 1
; COMPUTE_PGM_RSRC2:TIDIG_COMP_CNT: 0
	.section	.text._ZL26rocblas_haxpy_mod_8_kernelILi256EPK19rocblas_complex_numIfES3_PS1_EviT0_lT1_llT2_lli,"axG",@progbits,_ZL26rocblas_haxpy_mod_8_kernelILi256EPK19rocblas_complex_numIfES3_PS1_EviT0_lT1_llT2_lli,comdat
	.globl	_ZL26rocblas_haxpy_mod_8_kernelILi256EPK19rocblas_complex_numIfES3_PS1_EviT0_lT1_llT2_lli ; -- Begin function _ZL26rocblas_haxpy_mod_8_kernelILi256EPK19rocblas_complex_numIfES3_PS1_EviT0_lT1_llT2_lli
	.p2align	8
	.type	_ZL26rocblas_haxpy_mod_8_kernelILi256EPK19rocblas_complex_numIfES3_PS1_EviT0_lT1_llT2_lli,@function
_ZL26rocblas_haxpy_mod_8_kernelILi256EPK19rocblas_complex_numIfES3_PS1_EviT0_lT1_llT2_lli: ; @_ZL26rocblas_haxpy_mod_8_kernelILi256EPK19rocblas_complex_numIfES3_PS1_EviT0_lT1_llT2_lli
; %bb.0:
	s_load_dword s2, s[4:5], 0x0
	s_load_dwordx16 s[8:23], s[4:5], 0x8
	v_lshl_or_b32 v0, s6, 8, v0
	v_mov_b32_e32 v1, 0
	s_waitcnt lgkmcnt(0)
	s_ashr_i32 s3, s2, 31
	s_mul_i32 s0, s11, s7
	s_mul_hi_u32 s1, s10, s7
	s_add_i32 s1, s1, s0
	s_mul_i32 s0, s10, s7
	s_lshl_b64 s[0:1], s[0:1], 3
	s_add_u32 s4, s8, s0
	s_addc_u32 s5, s9, s1
	s_load_dwordx2 s[0:1], s[4:5], 0x0
	v_cmp_gt_i64_e32 vcc, s[2:3], v[0:1]
	s_waitcnt lgkmcnt(0)
	s_or_b32 s4, s0, s1
	s_bitset0_b32 s4, 31
	s_cmp_lg_u32 s4, 0
	s_cselect_b64 s[2:3], -1, 0
	s_and_b64 s[2:3], vcc, s[2:3]
	s_and_saveexec_b64 s[4:5], s[2:3]
	s_cbranch_execz .LBB27_2
; %bb.1:
	s_mul_i32 s2, s17, s7
	s_mul_hi_u32 s3, s16, s7
	s_add_i32 s3, s3, s2
	s_mul_i32 s2, s16, s7
	s_lshl_b64 s[2:3], s[2:3], 3
	s_add_u32 s4, s12, s2
	s_addc_u32 s5, s13, s3
	s_lshl_b64 s[2:3], s[14:15], 3
	s_add_u32 s2, s4, s2
	v_lshlrev_b64 v[0:1], 3, v[0:1]
	s_addc_u32 s3, s5, s3
	v_mov_b32_e32 v3, s3
	v_add_co_u32_e32 v2, vcc, s2, v0
	s_mul_i32 s2, s23, s7
	s_mul_hi_u32 s3, s22, s7
	s_add_i32 s3, s3, s2
	s_mul_i32 s2, s22, s7
	s_lshl_b64 s[2:3], s[2:3], 3
	s_add_u32 s4, s18, s2
	s_addc_u32 s5, s19, s3
	s_lshl_b64 s[2:3], s[20:21], 3
	s_add_u32 s2, s4, s2
	v_addc_co_u32_e32 v3, vcc, v3, v1, vcc
	s_addc_u32 s3, s5, s3
	v_mov_b32_e32 v4, s3
	global_load_dwordx2 v[2:3], v[2:3], off
	v_add_co_u32_e32 v0, vcc, s2, v0
	v_addc_co_u32_e32 v1, vcc, v4, v1, vcc
	global_load_dwordx2 v[4:5], v[0:1], off
	s_waitcnt vmcnt(1)
	v_mul_f32_e32 v6, s1, v3
	v_mul_f32_e32 v3, s0, v3
	v_fma_f32 v6, v2, s0, -v6
	v_fmac_f32_e32 v3, s1, v2
	s_waitcnt vmcnt(0)
	v_add_f32_e32 v2, v4, v6
	v_add_f32_e32 v3, v3, v5
	global_store_dwordx2 v[0:1], v[2:3], off
.LBB27_2:
	s_endpgm
	.section	.rodata,"a",@progbits
	.p2align	6, 0x0
	.amdhsa_kernel _ZL26rocblas_haxpy_mod_8_kernelILi256EPK19rocblas_complex_numIfES3_PS1_EviT0_lT1_llT2_lli
		.amdhsa_group_segment_fixed_size 0
		.amdhsa_private_segment_fixed_size 0
		.amdhsa_kernarg_size 76
		.amdhsa_user_sgpr_count 6
		.amdhsa_user_sgpr_private_segment_buffer 1
		.amdhsa_user_sgpr_dispatch_ptr 0
		.amdhsa_user_sgpr_queue_ptr 0
		.amdhsa_user_sgpr_kernarg_segment_ptr 1
		.amdhsa_user_sgpr_dispatch_id 0
		.amdhsa_user_sgpr_flat_scratch_init 0
		.amdhsa_user_sgpr_private_segment_size 0
		.amdhsa_uses_dynamic_stack 0
		.amdhsa_system_sgpr_private_segment_wavefront_offset 0
		.amdhsa_system_sgpr_workgroup_id_x 1
		.amdhsa_system_sgpr_workgroup_id_y 0
		.amdhsa_system_sgpr_workgroup_id_z 1
		.amdhsa_system_sgpr_workgroup_info 0
		.amdhsa_system_vgpr_workitem_id 0
		.amdhsa_next_free_vgpr 7
		.amdhsa_next_free_sgpr 24
		.amdhsa_reserve_vcc 1
		.amdhsa_reserve_flat_scratch 0
		.amdhsa_float_round_mode_32 0
		.amdhsa_float_round_mode_16_64 0
		.amdhsa_float_denorm_mode_32 3
		.amdhsa_float_denorm_mode_16_64 3
		.amdhsa_dx10_clamp 1
		.amdhsa_ieee_mode 1
		.amdhsa_fp16_overflow 0
		.amdhsa_exception_fp_ieee_invalid_op 0
		.amdhsa_exception_fp_denorm_src 0
		.amdhsa_exception_fp_ieee_div_zero 0
		.amdhsa_exception_fp_ieee_overflow 0
		.amdhsa_exception_fp_ieee_underflow 0
		.amdhsa_exception_fp_ieee_inexact 0
		.amdhsa_exception_int_div_zero 0
	.end_amdhsa_kernel
	.section	.text._ZL26rocblas_haxpy_mod_8_kernelILi256EPK19rocblas_complex_numIfES3_PS1_EviT0_lT1_llT2_lli,"axG",@progbits,_ZL26rocblas_haxpy_mod_8_kernelILi256EPK19rocblas_complex_numIfES3_PS1_EviT0_lT1_llT2_lli,comdat
.Lfunc_end27:
	.size	_ZL26rocblas_haxpy_mod_8_kernelILi256EPK19rocblas_complex_numIfES3_PS1_EviT0_lT1_llT2_lli, .Lfunc_end27-_ZL26rocblas_haxpy_mod_8_kernelILi256EPK19rocblas_complex_numIfES3_PS1_EviT0_lT1_llT2_lli
                                        ; -- End function
	.set _ZL26rocblas_haxpy_mod_8_kernelILi256EPK19rocblas_complex_numIfES3_PS1_EviT0_lT1_llT2_lli.num_vgpr, 7
	.set _ZL26rocblas_haxpy_mod_8_kernelILi256EPK19rocblas_complex_numIfES3_PS1_EviT0_lT1_llT2_lli.num_agpr, 0
	.set _ZL26rocblas_haxpy_mod_8_kernelILi256EPK19rocblas_complex_numIfES3_PS1_EviT0_lT1_llT2_lli.numbered_sgpr, 24
	.set _ZL26rocblas_haxpy_mod_8_kernelILi256EPK19rocblas_complex_numIfES3_PS1_EviT0_lT1_llT2_lli.num_named_barrier, 0
	.set _ZL26rocblas_haxpy_mod_8_kernelILi256EPK19rocblas_complex_numIfES3_PS1_EviT0_lT1_llT2_lli.private_seg_size, 0
	.set _ZL26rocblas_haxpy_mod_8_kernelILi256EPK19rocblas_complex_numIfES3_PS1_EviT0_lT1_llT2_lli.uses_vcc, 1
	.set _ZL26rocblas_haxpy_mod_8_kernelILi256EPK19rocblas_complex_numIfES3_PS1_EviT0_lT1_llT2_lli.uses_flat_scratch, 0
	.set _ZL26rocblas_haxpy_mod_8_kernelILi256EPK19rocblas_complex_numIfES3_PS1_EviT0_lT1_llT2_lli.has_dyn_sized_stack, 0
	.set _ZL26rocblas_haxpy_mod_8_kernelILi256EPK19rocblas_complex_numIfES3_PS1_EviT0_lT1_llT2_lli.has_recursion, 0
	.set _ZL26rocblas_haxpy_mod_8_kernelILi256EPK19rocblas_complex_numIfES3_PS1_EviT0_lT1_llT2_lli.has_indirect_call, 0
	.section	.AMDGPU.csdata,"",@progbits
; Kernel info:
; codeLenInByte = 284
; TotalNumSgprs: 28
; NumVgprs: 7
; ScratchSize: 0
; MemoryBound: 0
; FloatMode: 240
; IeeeMode: 1
; LDSByteSize: 0 bytes/workgroup (compile time only)
; SGPRBlocks: 3
; VGPRBlocks: 1
; NumSGPRsForWavesPerEU: 28
; NumVGPRsForWavesPerEU: 7
; Occupancy: 10
; WaveLimiterHint : 0
; COMPUTE_PGM_RSRC2:SCRATCH_EN: 0
; COMPUTE_PGM_RSRC2:USER_SGPR: 6
; COMPUTE_PGM_RSRC2:TRAP_HANDLER: 0
; COMPUTE_PGM_RSRC2:TGID_X_EN: 1
; COMPUTE_PGM_RSRC2:TGID_Y_EN: 0
; COMPUTE_PGM_RSRC2:TGID_Z_EN: 1
; COMPUTE_PGM_RSRC2:TIDIG_COMP_CNT: 0
	.section	.text._ZL26rocblas_haxpy_mlt_8_kernelILi256EDF16_PK19rocblas_complex_numIfEPS1_EviT0_lT1_llT2_lli,"axG",@progbits,_ZL26rocblas_haxpy_mlt_8_kernelILi256EDF16_PK19rocblas_complex_numIfEPS1_EviT0_lT1_llT2_lli,comdat
	.globl	_ZL26rocblas_haxpy_mlt_8_kernelILi256EDF16_PK19rocblas_complex_numIfEPS1_EviT0_lT1_llT2_lli ; -- Begin function _ZL26rocblas_haxpy_mlt_8_kernelILi256EDF16_PK19rocblas_complex_numIfEPS1_EviT0_lT1_llT2_lli
	.p2align	8
	.type	_ZL26rocblas_haxpy_mlt_8_kernelILi256EDF16_PK19rocblas_complex_numIfEPS1_EviT0_lT1_llT2_lli,@function
_ZL26rocblas_haxpy_mlt_8_kernelILi256EDF16_PK19rocblas_complex_numIfEPS1_EviT0_lT1_llT2_lli: ; @_ZL26rocblas_haxpy_mlt_8_kernelILi256EDF16_PK19rocblas_complex_numIfEPS1_EviT0_lT1_llT2_lli
; %bb.0:
	s_load_dwordx2 s[0:1], s[4:5], 0x0
	s_waitcnt lgkmcnt(0)
	s_pack_ll_b32_b16 s2, s1, s1
	s_and_b32 s2, s2, 0x7fff
	s_cmp_eq_u32 s2, 0
	s_cbranch_scc1 .LBB28_3
; %bb.1:
	v_lshl_or_b32 v0, s6, 8, v0
	v_mov_b32_e32 v1, 0
	v_lshlrev_b64 v[0:1], 3, v[0:1]
	s_ashr_i32 s3, s0, 31
	s_mov_b32 s2, s0
	v_cmp_gt_i64_e32 vcc, s[2:3], v[0:1]
	s_and_saveexec_b64 s[2:3], vcc
	s_cbranch_execz .LBB28_3
; %bb.2:
	s_load_dwordx8 s[8:15], s[4:5], 0x10
	s_load_dwordx4 s[16:19], s[4:5], 0x30
	v_lshlrev_b64 v[0:1], 3, v[0:1]
	s_waitcnt lgkmcnt(0)
	s_mul_i32 s0, s13, s7
	s_mul_hi_u32 s3, s12, s7
	s_mul_i32 s2, s12, s7
	s_add_i32 s3, s3, s0
	s_lshl_b64 s[2:3], s[2:3], 3
	s_add_u32 s0, s8, s2
	s_addc_u32 s4, s9, s3
	s_lshl_b64 s[2:3], s[10:11], 3
	s_add_u32 s0, s0, s2
	s_addc_u32 s2, s4, s3
	v_mov_b32_e32 v2, s2
	v_add_co_u32_e32 v8, vcc, s0, v0
	s_mul_i32 s0, s19, s7
	s_mul_hi_u32 s2, s18, s7
	s_add_i32 s3, s2, s0
	s_mul_i32 s2, s18, s7
	s_lshl_b64 s[2:3], s[2:3], 3
	s_add_u32 s0, s14, s2
	s_addc_u32 s4, s15, s3
	s_lshl_b64 s[2:3], s[16:17], 3
	s_add_u32 s0, s0, s2
	v_addc_co_u32_e32 v9, vcc, v2, v1, vcc
	s_addc_u32 s2, s4, s3
	v_mov_b32_e32 v2, s2
	v_add_co_u32_e32 v10, vcc, s0, v0
	v_addc_co_u32_e32 v11, vcc, v2, v1, vcc
	global_load_dwordx4 v[0:3], v[8:9], off
	global_load_dwordx4 v[4:7], v[10:11], off
	s_waitcnt vmcnt(0)
	v_pk_fma_f16 v3, s1, v3, v7 op_sel_hi:[0,1,1]
	v_pk_fma_f16 v2, s1, v2, v6 op_sel_hi:[0,1,1]
	;; [unrolled: 1-line block ×4, first 2 shown]
	global_store_dwordx4 v[10:11], v[0:3], off
.LBB28_3:
	s_endpgm
	.section	.rodata,"a",@progbits
	.p2align	6, 0x0
	.amdhsa_kernel _ZL26rocblas_haxpy_mlt_8_kernelILi256EDF16_PK19rocblas_complex_numIfEPS1_EviT0_lT1_llT2_lli
		.amdhsa_group_segment_fixed_size 0
		.amdhsa_private_segment_fixed_size 0
		.amdhsa_kernarg_size 68
		.amdhsa_user_sgpr_count 6
		.amdhsa_user_sgpr_private_segment_buffer 1
		.amdhsa_user_sgpr_dispatch_ptr 0
		.amdhsa_user_sgpr_queue_ptr 0
		.amdhsa_user_sgpr_kernarg_segment_ptr 1
		.amdhsa_user_sgpr_dispatch_id 0
		.amdhsa_user_sgpr_flat_scratch_init 0
		.amdhsa_user_sgpr_private_segment_size 0
		.amdhsa_uses_dynamic_stack 0
		.amdhsa_system_sgpr_private_segment_wavefront_offset 0
		.amdhsa_system_sgpr_workgroup_id_x 1
		.amdhsa_system_sgpr_workgroup_id_y 0
		.amdhsa_system_sgpr_workgroup_id_z 1
		.amdhsa_system_sgpr_workgroup_info 0
		.amdhsa_system_vgpr_workitem_id 0
		.amdhsa_next_free_vgpr 12
		.amdhsa_next_free_sgpr 20
		.amdhsa_reserve_vcc 1
		.amdhsa_reserve_flat_scratch 0
		.amdhsa_float_round_mode_32 0
		.amdhsa_float_round_mode_16_64 0
		.amdhsa_float_denorm_mode_32 3
		.amdhsa_float_denorm_mode_16_64 3
		.amdhsa_dx10_clamp 1
		.amdhsa_ieee_mode 1
		.amdhsa_fp16_overflow 0
		.amdhsa_exception_fp_ieee_invalid_op 0
		.amdhsa_exception_fp_denorm_src 0
		.amdhsa_exception_fp_ieee_div_zero 0
		.amdhsa_exception_fp_ieee_overflow 0
		.amdhsa_exception_fp_ieee_underflow 0
		.amdhsa_exception_fp_ieee_inexact 0
		.amdhsa_exception_int_div_zero 0
	.end_amdhsa_kernel
	.section	.text._ZL26rocblas_haxpy_mlt_8_kernelILi256EDF16_PK19rocblas_complex_numIfEPS1_EviT0_lT1_llT2_lli,"axG",@progbits,_ZL26rocblas_haxpy_mlt_8_kernelILi256EDF16_PK19rocblas_complex_numIfEPS1_EviT0_lT1_llT2_lli,comdat
.Lfunc_end28:
	.size	_ZL26rocblas_haxpy_mlt_8_kernelILi256EDF16_PK19rocblas_complex_numIfEPS1_EviT0_lT1_llT2_lli, .Lfunc_end28-_ZL26rocblas_haxpy_mlt_8_kernelILi256EDF16_PK19rocblas_complex_numIfEPS1_EviT0_lT1_llT2_lli
                                        ; -- End function
	.set _ZL26rocblas_haxpy_mlt_8_kernelILi256EDF16_PK19rocblas_complex_numIfEPS1_EviT0_lT1_llT2_lli.num_vgpr, 12
	.set _ZL26rocblas_haxpy_mlt_8_kernelILi256EDF16_PK19rocblas_complex_numIfEPS1_EviT0_lT1_llT2_lli.num_agpr, 0
	.set _ZL26rocblas_haxpy_mlt_8_kernelILi256EDF16_PK19rocblas_complex_numIfEPS1_EviT0_lT1_llT2_lli.numbered_sgpr, 20
	.set _ZL26rocblas_haxpy_mlt_8_kernelILi256EDF16_PK19rocblas_complex_numIfEPS1_EviT0_lT1_llT2_lli.num_named_barrier, 0
	.set _ZL26rocblas_haxpy_mlt_8_kernelILi256EDF16_PK19rocblas_complex_numIfEPS1_EviT0_lT1_llT2_lli.private_seg_size, 0
	.set _ZL26rocblas_haxpy_mlt_8_kernelILi256EDF16_PK19rocblas_complex_numIfEPS1_EviT0_lT1_llT2_lli.uses_vcc, 1
	.set _ZL26rocblas_haxpy_mlt_8_kernelILi256EDF16_PK19rocblas_complex_numIfEPS1_EviT0_lT1_llT2_lli.uses_flat_scratch, 0
	.set _ZL26rocblas_haxpy_mlt_8_kernelILi256EDF16_PK19rocblas_complex_numIfEPS1_EviT0_lT1_llT2_lli.has_dyn_sized_stack, 0
	.set _ZL26rocblas_haxpy_mlt_8_kernelILi256EDF16_PK19rocblas_complex_numIfEPS1_EviT0_lT1_llT2_lli.has_recursion, 0
	.set _ZL26rocblas_haxpy_mlt_8_kernelILi256EDF16_PK19rocblas_complex_numIfEPS1_EviT0_lT1_llT2_lli.has_indirect_call, 0
	.section	.AMDGPU.csdata,"",@progbits
; Kernel info:
; codeLenInByte = 268
; TotalNumSgprs: 24
; NumVgprs: 12
; ScratchSize: 0
; MemoryBound: 0
; FloatMode: 240
; IeeeMode: 1
; LDSByteSize: 0 bytes/workgroup (compile time only)
; SGPRBlocks: 2
; VGPRBlocks: 2
; NumSGPRsForWavesPerEU: 24
; NumVGPRsForWavesPerEU: 12
; Occupancy: 10
; WaveLimiterHint : 0
; COMPUTE_PGM_RSRC2:SCRATCH_EN: 0
; COMPUTE_PGM_RSRC2:USER_SGPR: 6
; COMPUTE_PGM_RSRC2:TRAP_HANDLER: 0
; COMPUTE_PGM_RSRC2:TGID_X_EN: 1
; COMPUTE_PGM_RSRC2:TGID_Y_EN: 0
; COMPUTE_PGM_RSRC2:TGID_Z_EN: 1
; COMPUTE_PGM_RSRC2:TIDIG_COMP_CNT: 0
	.section	.text._ZL26rocblas_haxpy_mod_8_kernelILi256E19rocblas_complex_numIfEPKS1_PS1_EviT0_lT1_llT2_lli,"axG",@progbits,_ZL26rocblas_haxpy_mod_8_kernelILi256E19rocblas_complex_numIfEPKS1_PS1_EviT0_lT1_llT2_lli,comdat
	.globl	_ZL26rocblas_haxpy_mod_8_kernelILi256E19rocblas_complex_numIfEPKS1_PS1_EviT0_lT1_llT2_lli ; -- Begin function _ZL26rocblas_haxpy_mod_8_kernelILi256E19rocblas_complex_numIfEPKS1_PS1_EviT0_lT1_llT2_lli
	.p2align	8
	.type	_ZL26rocblas_haxpy_mod_8_kernelILi256E19rocblas_complex_numIfEPKS1_PS1_EviT0_lT1_llT2_lli,@function
_ZL26rocblas_haxpy_mod_8_kernelILi256E19rocblas_complex_numIfEPKS1_PS1_EviT0_lT1_llT2_lli: ; @_ZL26rocblas_haxpy_mod_8_kernelILi256E19rocblas_complex_numIfEPKS1_PS1_EviT0_lT1_llT2_lli
; %bb.0:
	s_load_dwordx4 s[0:3], s[4:5], 0x0
	v_lshl_or_b32 v0, s6, 8, v0
	v_mov_b32_e32 v1, 0
	s_waitcnt lgkmcnt(0)
	s_or_b32 s3, s1, s2
	s_bitset0_b32 s3, 31
	s_cmp_lg_u32 s3, 0
	s_cselect_b64 s[8:9], -1, 0
	s_ashr_i32 s11, s0, 31
	s_mov_b32 s10, s0
	v_cmp_gt_i64_e32 vcc, s[10:11], v[0:1]
	s_and_b64 s[8:9], vcc, s[8:9]
	s_and_saveexec_b64 s[10:11], s[8:9]
	s_cbranch_execz .LBB29_2
; %bb.1:
	s_load_dwordx8 s[8:15], s[4:5], 0x18
	s_load_dwordx4 s[16:19], s[4:5], 0x38
	v_lshlrev_b64 v[0:1], 3, v[0:1]
	s_waitcnt lgkmcnt(0)
	s_mul_i32 s0, s13, s7
	s_mul_hi_u32 s3, s12, s7
	s_mul_i32 s4, s12, s7
	s_add_i32 s5, s3, s0
	s_lshl_b64 s[4:5], s[4:5], 3
	s_add_u32 s0, s8, s4
	s_addc_u32 s3, s9, s5
	s_lshl_b64 s[4:5], s[10:11], 3
	s_add_u32 s0, s0, s4
	s_addc_u32 s3, s3, s5
	v_mov_b32_e32 v3, s3
	v_add_co_u32_e32 v2, vcc, s0, v0
	s_mul_i32 s0, s19, s7
	s_mul_hi_u32 s3, s18, s7
	s_add_i32 s5, s3, s0
	s_mul_i32 s4, s18, s7
	s_lshl_b64 s[4:5], s[4:5], 3
	s_add_u32 s0, s14, s4
	s_addc_u32 s3, s15, s5
	s_lshl_b64 s[4:5], s[16:17], 3
	s_add_u32 s0, s0, s4
	v_addc_co_u32_e32 v3, vcc, v3, v1, vcc
	s_addc_u32 s3, s3, s5
	v_mov_b32_e32 v4, s3
	global_load_dwordx2 v[2:3], v[2:3], off
	v_add_co_u32_e32 v0, vcc, s0, v0
	v_addc_co_u32_e32 v1, vcc, v4, v1, vcc
	global_load_dwordx2 v[4:5], v[0:1], off
	s_waitcnt vmcnt(1)
	v_mul_f32_e32 v6, s2, v3
	v_mul_f32_e32 v3, s1, v3
	v_fma_f32 v6, v2, s1, -v6
	v_fmac_f32_e32 v3, s2, v2
	s_waitcnt vmcnt(0)
	v_add_f32_e32 v2, v4, v6
	v_add_f32_e32 v3, v3, v5
	global_store_dwordx2 v[0:1], v[2:3], off
.LBB29_2:
	s_endpgm
	.section	.rodata,"a",@progbits
	.p2align	6, 0x0
	.amdhsa_kernel _ZL26rocblas_haxpy_mod_8_kernelILi256E19rocblas_complex_numIfEPKS1_PS1_EviT0_lT1_llT2_lli
		.amdhsa_group_segment_fixed_size 0
		.amdhsa_private_segment_fixed_size 0
		.amdhsa_kernarg_size 76
		.amdhsa_user_sgpr_count 6
		.amdhsa_user_sgpr_private_segment_buffer 1
		.amdhsa_user_sgpr_dispatch_ptr 0
		.amdhsa_user_sgpr_queue_ptr 0
		.amdhsa_user_sgpr_kernarg_segment_ptr 1
		.amdhsa_user_sgpr_dispatch_id 0
		.amdhsa_user_sgpr_flat_scratch_init 0
		.amdhsa_user_sgpr_private_segment_size 0
		.amdhsa_uses_dynamic_stack 0
		.amdhsa_system_sgpr_private_segment_wavefront_offset 0
		.amdhsa_system_sgpr_workgroup_id_x 1
		.amdhsa_system_sgpr_workgroup_id_y 0
		.amdhsa_system_sgpr_workgroup_id_z 1
		.amdhsa_system_sgpr_workgroup_info 0
		.amdhsa_system_vgpr_workitem_id 0
		.amdhsa_next_free_vgpr 7
		.amdhsa_next_free_sgpr 20
		.amdhsa_reserve_vcc 1
		.amdhsa_reserve_flat_scratch 0
		.amdhsa_float_round_mode_32 0
		.amdhsa_float_round_mode_16_64 0
		.amdhsa_float_denorm_mode_32 3
		.amdhsa_float_denorm_mode_16_64 3
		.amdhsa_dx10_clamp 1
		.amdhsa_ieee_mode 1
		.amdhsa_fp16_overflow 0
		.amdhsa_exception_fp_ieee_invalid_op 0
		.amdhsa_exception_fp_denorm_src 0
		.amdhsa_exception_fp_ieee_div_zero 0
		.amdhsa_exception_fp_ieee_overflow 0
		.amdhsa_exception_fp_ieee_underflow 0
		.amdhsa_exception_fp_ieee_inexact 0
		.amdhsa_exception_int_div_zero 0
	.end_amdhsa_kernel
	.section	.text._ZL26rocblas_haxpy_mod_8_kernelILi256E19rocblas_complex_numIfEPKS1_PS1_EviT0_lT1_llT2_lli,"axG",@progbits,_ZL26rocblas_haxpy_mod_8_kernelILi256E19rocblas_complex_numIfEPKS1_PS1_EviT0_lT1_llT2_lli,comdat
.Lfunc_end29:
	.size	_ZL26rocblas_haxpy_mod_8_kernelILi256E19rocblas_complex_numIfEPKS1_PS1_EviT0_lT1_llT2_lli, .Lfunc_end29-_ZL26rocblas_haxpy_mod_8_kernelILi256E19rocblas_complex_numIfEPKS1_PS1_EviT0_lT1_llT2_lli
                                        ; -- End function
	.set _ZL26rocblas_haxpy_mod_8_kernelILi256E19rocblas_complex_numIfEPKS1_PS1_EviT0_lT1_llT2_lli.num_vgpr, 7
	.set _ZL26rocblas_haxpy_mod_8_kernelILi256E19rocblas_complex_numIfEPKS1_PS1_EviT0_lT1_llT2_lli.num_agpr, 0
	.set _ZL26rocblas_haxpy_mod_8_kernelILi256E19rocblas_complex_numIfEPKS1_PS1_EviT0_lT1_llT2_lli.numbered_sgpr, 20
	.set _ZL26rocblas_haxpy_mod_8_kernelILi256E19rocblas_complex_numIfEPKS1_PS1_EviT0_lT1_llT2_lli.num_named_barrier, 0
	.set _ZL26rocblas_haxpy_mod_8_kernelILi256E19rocblas_complex_numIfEPKS1_PS1_EviT0_lT1_llT2_lli.private_seg_size, 0
	.set _ZL26rocblas_haxpy_mod_8_kernelILi256E19rocblas_complex_numIfEPKS1_PS1_EviT0_lT1_llT2_lli.uses_vcc, 1
	.set _ZL26rocblas_haxpy_mod_8_kernelILi256E19rocblas_complex_numIfEPKS1_PS1_EviT0_lT1_llT2_lli.uses_flat_scratch, 0
	.set _ZL26rocblas_haxpy_mod_8_kernelILi256E19rocblas_complex_numIfEPKS1_PS1_EviT0_lT1_llT2_lli.has_dyn_sized_stack, 0
	.set _ZL26rocblas_haxpy_mod_8_kernelILi256E19rocblas_complex_numIfEPKS1_PS1_EviT0_lT1_llT2_lli.has_recursion, 0
	.set _ZL26rocblas_haxpy_mod_8_kernelILi256E19rocblas_complex_numIfEPKS1_PS1_EviT0_lT1_llT2_lli.has_indirect_call, 0
	.section	.AMDGPU.csdata,"",@progbits
; Kernel info:
; codeLenInByte = 260
; TotalNumSgprs: 24
; NumVgprs: 7
; ScratchSize: 0
; MemoryBound: 0
; FloatMode: 240
; IeeeMode: 1
; LDSByteSize: 0 bytes/workgroup (compile time only)
; SGPRBlocks: 2
; VGPRBlocks: 1
; NumSGPRsForWavesPerEU: 24
; NumVGPRsForWavesPerEU: 7
; Occupancy: 10
; WaveLimiterHint : 0
; COMPUTE_PGM_RSRC2:SCRATCH_EN: 0
; COMPUTE_PGM_RSRC2:USER_SGPR: 6
; COMPUTE_PGM_RSRC2:TRAP_HANDLER: 0
; COMPUTE_PGM_RSRC2:TGID_X_EN: 1
; COMPUTE_PGM_RSRC2:TGID_Y_EN: 0
; COMPUTE_PGM_RSRC2:TGID_Z_EN: 1
; COMPUTE_PGM_RSRC2:TIDIG_COMP_CNT: 0
	.section	.text._ZL22rocblas_saxpy_2_kernelILi256E19rocblas_complex_numIfEPKS1_S3_PS1_EviT1_lT2_llT3_lli,"axG",@progbits,_ZL22rocblas_saxpy_2_kernelILi256E19rocblas_complex_numIfEPKS1_S3_PS1_EviT1_lT2_llT3_lli,comdat
	.globl	_ZL22rocblas_saxpy_2_kernelILi256E19rocblas_complex_numIfEPKS1_S3_PS1_EviT1_lT2_llT3_lli ; -- Begin function _ZL22rocblas_saxpy_2_kernelILi256E19rocblas_complex_numIfEPKS1_S3_PS1_EviT1_lT2_llT3_lli
	.p2align	8
	.type	_ZL22rocblas_saxpy_2_kernelILi256E19rocblas_complex_numIfEPKS1_S3_PS1_EviT1_lT2_llT3_lli,@function
_ZL22rocblas_saxpy_2_kernelILi256E19rocblas_complex_numIfEPKS1_S3_PS1_EviT1_lT2_llT3_lli: ; @_ZL22rocblas_saxpy_2_kernelILi256E19rocblas_complex_numIfEPKS1_S3_PS1_EviT1_lT2_llT3_lli
; %bb.0:
	s_load_dwordx4 s[0:3], s[4:5], 0x8
	s_waitcnt lgkmcnt(0)
	s_mul_i32 s3, s3, s7
	s_mul_hi_u32 s8, s2, s7
	s_add_i32 s3, s8, s3
	s_mul_i32 s2, s2, s7
	s_lshl_b64 s[2:3], s[2:3], 3
	s_add_u32 s2, s0, s2
	s_addc_u32 s3, s1, s3
	s_load_dwordx2 s[0:1], s[2:3], 0x0
	s_waitcnt lgkmcnt(0)
	s_or_b32 s2, s0, s1
	s_bitset0_b32 s2, 31
	s_cmp_eq_u32 s2, 0
	s_cbranch_scc1 .LBB30_5
; %bb.1:
	s_load_dwordx2 s[2:3], s[4:5], 0x18
	s_load_dword s8, s[4:5], 0x0
	s_load_dwordx2 s[10:11], s[4:5], 0x30
	s_load_dwordx4 s[12:15], s[4:5], 0x20
	s_load_dwordx4 s[16:19], s[4:5], 0x38
	v_lshlrev_b32_e32 v0, 1, v0
	v_lshl_or_b32 v0, s6, 9, v0
	v_mov_b32_e32 v1, 0
	s_waitcnt lgkmcnt(0)
	s_mul_i32 s4, s15, s7
	s_mul_hi_u32 s5, s14, s7
	s_add_i32 s5, s5, s4
	s_mul_i32 s4, s14, s7
	s_lshl_b64 s[4:5], s[4:5], 3
	s_add_u32 s4, s2, s4
	s_addc_u32 s5, s3, s5
	s_lshl_b64 s[2:3], s[12:13], 3
	s_add_u32 s6, s4, s2
	s_addc_u32 s9, s5, s3
	s_mul_i32 s2, s19, s7
	s_mul_hi_u32 s3, s18, s7
	s_add_i32 s3, s3, s2
	s_mul_i32 s2, s18, s7
	s_lshl_b64 s[2:3], s[2:3], 3
	s_add_u32 s4, s10, s2
	s_addc_u32 s5, s11, s3
	s_lshl_b64 s[2:3], s[16:17], 3
	s_add_u32 s7, s4, s2
	s_addc_u32 s10, s5, s3
	s_add_i32 s2, s8, -1
	s_ashr_i32 s3, s2, 31
	v_cmp_gt_i64_e32 vcc, s[2:3], v[0:1]
	v_lshlrev_b64 v[2:3], 3, v[0:1]
	s_and_saveexec_b64 s[4:5], vcc
	s_cbranch_execz .LBB30_3
; %bb.2:
	v_mov_b32_e32 v5, s9
	v_add_co_u32_e32 v4, vcc, s6, v2
	v_addc_co_u32_e32 v5, vcc, v5, v3, vcc
	global_load_dwordx4 v[4:7], v[4:5], off
	v_mov_b32_e32 v8, s10
	v_add_co_u32_e32 v12, vcc, s7, v2
	v_addc_co_u32_e32 v13, vcc, v8, v3, vcc
	global_load_dwordx4 v[8:11], v[12:13], off
	s_waitcnt vmcnt(1)
	v_mul_f32_e32 v14, s1, v5
	v_mul_f32_e32 v5, s0, v5
	;; [unrolled: 1-line block ×4, first 2 shown]
	v_fma_f32 v14, v4, s0, -v14
	v_fmac_f32_e32 v5, s1, v4
	v_fma_f32 v15, v6, s0, -v15
	v_fmac_f32_e32 v7, s1, v6
	s_waitcnt vmcnt(0)
	v_add_f32_e32 v4, v14, v8
	v_add_f32_e32 v5, v5, v9
	;; [unrolled: 1-line block ×4, first 2 shown]
	global_store_dwordx4 v[12:13], v[4:7], off
.LBB30_3:
	s_or_b64 exec, exec, s[4:5]
	s_bitcmp1_b32 s8, 0
	v_cmp_eq_u64_e32 vcc, s[2:3], v[0:1]
	s_cselect_b64 s[2:3], -1, 0
	s_and_b64 s[2:3], s[2:3], vcc
	s_and_saveexec_b64 s[4:5], s[2:3]
	s_cbranch_execz .LBB30_5
; %bb.4:
	v_mov_b32_e32 v1, s9
	v_add_co_u32_e32 v0, vcc, s6, v2
	v_addc_co_u32_e32 v1, vcc, v1, v3, vcc
	v_mov_b32_e32 v4, s10
	global_load_dwordx2 v[0:1], v[0:1], off
	v_add_co_u32_e32 v2, vcc, s7, v2
	v_addc_co_u32_e32 v3, vcc, v4, v3, vcc
	global_load_dwordx2 v[4:5], v[2:3], off
	s_waitcnt vmcnt(1)
	v_mul_f32_e32 v6, s1, v1
	v_mul_f32_e32 v1, s0, v1
	v_fma_f32 v6, v0, s0, -v6
	v_fmac_f32_e32 v1, s1, v0
	s_waitcnt vmcnt(0)
	v_add_f32_e32 v0, v6, v4
	v_add_f32_e32 v1, v1, v5
	global_store_dwordx2 v[2:3], v[0:1], off
.LBB30_5:
	s_endpgm
	.section	.rodata,"a",@progbits
	.p2align	6, 0x0
	.amdhsa_kernel _ZL22rocblas_saxpy_2_kernelILi256E19rocblas_complex_numIfEPKS1_S3_PS1_EviT1_lT2_llT3_lli
		.amdhsa_group_segment_fixed_size 0
		.amdhsa_private_segment_fixed_size 0
		.amdhsa_kernarg_size 76
		.amdhsa_user_sgpr_count 6
		.amdhsa_user_sgpr_private_segment_buffer 1
		.amdhsa_user_sgpr_dispatch_ptr 0
		.amdhsa_user_sgpr_queue_ptr 0
		.amdhsa_user_sgpr_kernarg_segment_ptr 1
		.amdhsa_user_sgpr_dispatch_id 0
		.amdhsa_user_sgpr_flat_scratch_init 0
		.amdhsa_user_sgpr_private_segment_size 0
		.amdhsa_uses_dynamic_stack 0
		.amdhsa_system_sgpr_private_segment_wavefront_offset 0
		.amdhsa_system_sgpr_workgroup_id_x 1
		.amdhsa_system_sgpr_workgroup_id_y 0
		.amdhsa_system_sgpr_workgroup_id_z 1
		.amdhsa_system_sgpr_workgroup_info 0
		.amdhsa_system_vgpr_workitem_id 0
		.amdhsa_next_free_vgpr 16
		.amdhsa_next_free_sgpr 20
		.amdhsa_reserve_vcc 1
		.amdhsa_reserve_flat_scratch 0
		.amdhsa_float_round_mode_32 0
		.amdhsa_float_round_mode_16_64 0
		.amdhsa_float_denorm_mode_32 3
		.amdhsa_float_denorm_mode_16_64 3
		.amdhsa_dx10_clamp 1
		.amdhsa_ieee_mode 1
		.amdhsa_fp16_overflow 0
		.amdhsa_exception_fp_ieee_invalid_op 0
		.amdhsa_exception_fp_denorm_src 0
		.amdhsa_exception_fp_ieee_div_zero 0
		.amdhsa_exception_fp_ieee_overflow 0
		.amdhsa_exception_fp_ieee_underflow 0
		.amdhsa_exception_fp_ieee_inexact 0
		.amdhsa_exception_int_div_zero 0
	.end_amdhsa_kernel
	.section	.text._ZL22rocblas_saxpy_2_kernelILi256E19rocblas_complex_numIfEPKS1_S3_PS1_EviT1_lT2_llT3_lli,"axG",@progbits,_ZL22rocblas_saxpy_2_kernelILi256E19rocblas_complex_numIfEPKS1_S3_PS1_EviT1_lT2_llT3_lli,comdat
.Lfunc_end30:
	.size	_ZL22rocblas_saxpy_2_kernelILi256E19rocblas_complex_numIfEPKS1_S3_PS1_EviT1_lT2_llT3_lli, .Lfunc_end30-_ZL22rocblas_saxpy_2_kernelILi256E19rocblas_complex_numIfEPKS1_S3_PS1_EviT1_lT2_llT3_lli
                                        ; -- End function
	.set _ZL22rocblas_saxpy_2_kernelILi256E19rocblas_complex_numIfEPKS1_S3_PS1_EviT1_lT2_llT3_lli.num_vgpr, 16
	.set _ZL22rocblas_saxpy_2_kernelILi256E19rocblas_complex_numIfEPKS1_S3_PS1_EviT1_lT2_llT3_lli.num_agpr, 0
	.set _ZL22rocblas_saxpy_2_kernelILi256E19rocblas_complex_numIfEPKS1_S3_PS1_EviT1_lT2_llT3_lli.numbered_sgpr, 20
	.set _ZL22rocblas_saxpy_2_kernelILi256E19rocblas_complex_numIfEPKS1_S3_PS1_EviT1_lT2_llT3_lli.num_named_barrier, 0
	.set _ZL22rocblas_saxpy_2_kernelILi256E19rocblas_complex_numIfEPKS1_S3_PS1_EviT1_lT2_llT3_lli.private_seg_size, 0
	.set _ZL22rocblas_saxpy_2_kernelILi256E19rocblas_complex_numIfEPKS1_S3_PS1_EviT1_lT2_llT3_lli.uses_vcc, 1
	.set _ZL22rocblas_saxpy_2_kernelILi256E19rocblas_complex_numIfEPKS1_S3_PS1_EviT1_lT2_llT3_lli.uses_flat_scratch, 0
	.set _ZL22rocblas_saxpy_2_kernelILi256E19rocblas_complex_numIfEPKS1_S3_PS1_EviT1_lT2_llT3_lli.has_dyn_sized_stack, 0
	.set _ZL22rocblas_saxpy_2_kernelILi256E19rocblas_complex_numIfEPKS1_S3_PS1_EviT1_lT2_llT3_lli.has_recursion, 0
	.set _ZL22rocblas_saxpy_2_kernelILi256E19rocblas_complex_numIfEPKS1_S3_PS1_EviT1_lT2_llT3_lli.has_indirect_call, 0
	.section	.AMDGPU.csdata,"",@progbits
; Kernel info:
; codeLenInByte = 464
; TotalNumSgprs: 24
; NumVgprs: 16
; ScratchSize: 0
; MemoryBound: 0
; FloatMode: 240
; IeeeMode: 1
; LDSByteSize: 0 bytes/workgroup (compile time only)
; SGPRBlocks: 2
; VGPRBlocks: 3
; NumSGPRsForWavesPerEU: 24
; NumVGPRsForWavesPerEU: 16
; Occupancy: 10
; WaveLimiterHint : 0
; COMPUTE_PGM_RSRC2:SCRATCH_EN: 0
; COMPUTE_PGM_RSRC2:USER_SGPR: 6
; COMPUTE_PGM_RSRC2:TRAP_HANDLER: 0
; COMPUTE_PGM_RSRC2:TGID_X_EN: 1
; COMPUTE_PGM_RSRC2:TGID_Y_EN: 0
; COMPUTE_PGM_RSRC2:TGID_Z_EN: 1
; COMPUTE_PGM_RSRC2:TIDIG_COMP_CNT: 0
	.section	.text._ZL22rocblas_saxpy_2_kernelILi256E19rocblas_complex_numIfES1_PKS1_PS1_EviT1_lT2_llT3_lli,"axG",@progbits,_ZL22rocblas_saxpy_2_kernelILi256E19rocblas_complex_numIfES1_PKS1_PS1_EviT1_lT2_llT3_lli,comdat
	.globl	_ZL22rocblas_saxpy_2_kernelILi256E19rocblas_complex_numIfES1_PKS1_PS1_EviT1_lT2_llT3_lli ; -- Begin function _ZL22rocblas_saxpy_2_kernelILi256E19rocblas_complex_numIfES1_PKS1_PS1_EviT1_lT2_llT3_lli
	.p2align	8
	.type	_ZL22rocblas_saxpy_2_kernelILi256E19rocblas_complex_numIfES1_PKS1_PS1_EviT1_lT2_llT3_lli,@function
_ZL22rocblas_saxpy_2_kernelILi256E19rocblas_complex_numIfES1_PKS1_PS1_EviT1_lT2_llT3_lli: ; @_ZL22rocblas_saxpy_2_kernelILi256E19rocblas_complex_numIfES1_PKS1_PS1_EviT1_lT2_llT3_lli
; %bb.0:
	s_load_dwordx4 s[0:3], s[4:5], 0x0
	s_waitcnt lgkmcnt(0)
	s_or_b32 s3, s1, s2
	s_bitset0_b32 s3, 31
	s_cmp_eq_u32 s3, 0
	s_cbranch_scc1 .LBB31_5
; %bb.1:
	s_load_dwordx2 s[16:17], s[4:5], 0x18
	s_load_dwordx4 s[8:11], s[4:5], 0x20
	s_load_dwordx2 s[18:19], s[4:5], 0x30
	s_load_dwordx4 s[12:15], s[4:5], 0x38
	v_lshlrev_b32_e32 v0, 1, v0
	v_lshl_or_b32 v0, s6, 9, v0
	s_waitcnt lgkmcnt(0)
	s_mul_i32 s3, s11, s7
	s_mul_hi_u32 s4, s10, s7
	s_add_i32 s5, s4, s3
	s_mul_i32 s4, s10, s7
	s_lshl_b64 s[4:5], s[4:5], 3
	s_add_u32 s3, s16, s4
	s_addc_u32 s6, s17, s5
	s_lshl_b64 s[4:5], s[8:9], 3
	s_add_u32 s3, s3, s4
	s_addc_u32 s8, s6, s5
	s_mul_i32 s4, s15, s7
	s_mul_hi_u32 s5, s14, s7
	s_add_i32 s5, s5, s4
	s_mul_i32 s4, s14, s7
	s_lshl_b64 s[4:5], s[4:5], 3
	s_add_u32 s6, s18, s4
	s_addc_u32 s7, s19, s5
	s_lshl_b64 s[4:5], s[12:13], 3
	s_add_u32 s9, s6, s4
	s_addc_u32 s10, s7, s5
	s_add_i32 s4, s0, -1
	v_mov_b32_e32 v1, 0
	s_ashr_i32 s5, s4, 31
	v_cmp_gt_i64_e32 vcc, s[4:5], v[0:1]
	v_lshlrev_b64 v[2:3], 3, v[0:1]
	s_and_saveexec_b64 s[6:7], vcc
	s_cbranch_execz .LBB31_3
; %bb.2:
	v_mov_b32_e32 v5, s8
	v_add_co_u32_e32 v4, vcc, s3, v2
	v_addc_co_u32_e32 v5, vcc, v5, v3, vcc
	global_load_dwordx4 v[4:7], v[4:5], off
	v_mov_b32_e32 v8, s10
	v_add_co_u32_e32 v12, vcc, s9, v2
	v_addc_co_u32_e32 v13, vcc, v8, v3, vcc
	global_load_dwordx4 v[8:11], v[12:13], off
	s_waitcnt vmcnt(1)
	v_mul_f32_e32 v14, s2, v5
	v_mul_f32_e32 v5, s1, v5
	;; [unrolled: 1-line block ×4, first 2 shown]
	v_fma_f32 v14, v4, s1, -v14
	v_fmac_f32_e32 v5, s2, v4
	v_fma_f32 v15, v6, s1, -v15
	v_fmac_f32_e32 v7, s2, v6
	s_waitcnt vmcnt(0)
	v_add_f32_e32 v4, v14, v8
	v_add_f32_e32 v5, v5, v9
	;; [unrolled: 1-line block ×4, first 2 shown]
	global_store_dwordx4 v[12:13], v[4:7], off
.LBB31_3:
	s_or_b64 exec, exec, s[6:7]
	s_bitcmp1_b32 s0, 0
	v_cmp_eq_u64_e32 vcc, s[4:5], v[0:1]
	s_cselect_b64 s[4:5], -1, 0
	s_and_b64 s[4:5], s[4:5], vcc
	s_and_saveexec_b64 s[6:7], s[4:5]
	s_cbranch_execz .LBB31_5
; %bb.4:
	v_mov_b32_e32 v1, s8
	v_add_co_u32_e32 v0, vcc, s3, v2
	v_addc_co_u32_e32 v1, vcc, v1, v3, vcc
	v_mov_b32_e32 v4, s10
	global_load_dwordx2 v[0:1], v[0:1], off
	v_add_co_u32_e32 v2, vcc, s9, v2
	v_addc_co_u32_e32 v3, vcc, v4, v3, vcc
	global_load_dwordx2 v[4:5], v[2:3], off
	s_waitcnt vmcnt(1)
	v_mul_f32_e32 v6, s2, v1
	v_mul_f32_e32 v1, s1, v1
	v_fma_f32 v6, v0, s1, -v6
	v_fmac_f32_e32 v1, s2, v0
	s_waitcnt vmcnt(0)
	v_add_f32_e32 v0, v6, v4
	v_add_f32_e32 v1, v1, v5
	global_store_dwordx2 v[2:3], v[0:1], off
.LBB31_5:
	s_endpgm
	.section	.rodata,"a",@progbits
	.p2align	6, 0x0
	.amdhsa_kernel _ZL22rocblas_saxpy_2_kernelILi256E19rocblas_complex_numIfES1_PKS1_PS1_EviT1_lT2_llT3_lli
		.amdhsa_group_segment_fixed_size 0
		.amdhsa_private_segment_fixed_size 0
		.amdhsa_kernarg_size 76
		.amdhsa_user_sgpr_count 6
		.amdhsa_user_sgpr_private_segment_buffer 1
		.amdhsa_user_sgpr_dispatch_ptr 0
		.amdhsa_user_sgpr_queue_ptr 0
		.amdhsa_user_sgpr_kernarg_segment_ptr 1
		.amdhsa_user_sgpr_dispatch_id 0
		.amdhsa_user_sgpr_flat_scratch_init 0
		.amdhsa_user_sgpr_private_segment_size 0
		.amdhsa_uses_dynamic_stack 0
		.amdhsa_system_sgpr_private_segment_wavefront_offset 0
		.amdhsa_system_sgpr_workgroup_id_x 1
		.amdhsa_system_sgpr_workgroup_id_y 0
		.amdhsa_system_sgpr_workgroup_id_z 1
		.amdhsa_system_sgpr_workgroup_info 0
		.amdhsa_system_vgpr_workitem_id 0
		.amdhsa_next_free_vgpr 16
		.amdhsa_next_free_sgpr 20
		.amdhsa_reserve_vcc 1
		.amdhsa_reserve_flat_scratch 0
		.amdhsa_float_round_mode_32 0
		.amdhsa_float_round_mode_16_64 0
		.amdhsa_float_denorm_mode_32 3
		.amdhsa_float_denorm_mode_16_64 3
		.amdhsa_dx10_clamp 1
		.amdhsa_ieee_mode 1
		.amdhsa_fp16_overflow 0
		.amdhsa_exception_fp_ieee_invalid_op 0
		.amdhsa_exception_fp_denorm_src 0
		.amdhsa_exception_fp_ieee_div_zero 0
		.amdhsa_exception_fp_ieee_overflow 0
		.amdhsa_exception_fp_ieee_underflow 0
		.amdhsa_exception_fp_ieee_inexact 0
		.amdhsa_exception_int_div_zero 0
	.end_amdhsa_kernel
	.section	.text._ZL22rocblas_saxpy_2_kernelILi256E19rocblas_complex_numIfES1_PKS1_PS1_EviT1_lT2_llT3_lli,"axG",@progbits,_ZL22rocblas_saxpy_2_kernelILi256E19rocblas_complex_numIfES1_PKS1_PS1_EviT1_lT2_llT3_lli,comdat
.Lfunc_end31:
	.size	_ZL22rocblas_saxpy_2_kernelILi256E19rocblas_complex_numIfES1_PKS1_PS1_EviT1_lT2_llT3_lli, .Lfunc_end31-_ZL22rocblas_saxpy_2_kernelILi256E19rocblas_complex_numIfES1_PKS1_PS1_EviT1_lT2_llT3_lli
                                        ; -- End function
	.set _ZL22rocblas_saxpy_2_kernelILi256E19rocblas_complex_numIfES1_PKS1_PS1_EviT1_lT2_llT3_lli.num_vgpr, 16
	.set _ZL22rocblas_saxpy_2_kernelILi256E19rocblas_complex_numIfES1_PKS1_PS1_EviT1_lT2_llT3_lli.num_agpr, 0
	.set _ZL22rocblas_saxpy_2_kernelILi256E19rocblas_complex_numIfES1_PKS1_PS1_EviT1_lT2_llT3_lli.numbered_sgpr, 20
	.set _ZL22rocblas_saxpy_2_kernelILi256E19rocblas_complex_numIfES1_PKS1_PS1_EviT1_lT2_llT3_lli.num_named_barrier, 0
	.set _ZL22rocblas_saxpy_2_kernelILi256E19rocblas_complex_numIfES1_PKS1_PS1_EviT1_lT2_llT3_lli.private_seg_size, 0
	.set _ZL22rocblas_saxpy_2_kernelILi256E19rocblas_complex_numIfES1_PKS1_PS1_EviT1_lT2_llT3_lli.uses_vcc, 1
	.set _ZL22rocblas_saxpy_2_kernelILi256E19rocblas_complex_numIfES1_PKS1_PS1_EviT1_lT2_llT3_lli.uses_flat_scratch, 0
	.set _ZL22rocblas_saxpy_2_kernelILi256E19rocblas_complex_numIfES1_PKS1_PS1_EviT1_lT2_llT3_lli.has_dyn_sized_stack, 0
	.set _ZL22rocblas_saxpy_2_kernelILi256E19rocblas_complex_numIfES1_PKS1_PS1_EviT1_lT2_llT3_lli.has_recursion, 0
	.set _ZL22rocblas_saxpy_2_kernelILi256E19rocblas_complex_numIfES1_PKS1_PS1_EviT1_lT2_llT3_lli.has_indirect_call, 0
	.section	.AMDGPU.csdata,"",@progbits
; Kernel info:
; codeLenInByte = 416
; TotalNumSgprs: 24
; NumVgprs: 16
; ScratchSize: 0
; MemoryBound: 0
; FloatMode: 240
; IeeeMode: 1
; LDSByteSize: 0 bytes/workgroup (compile time only)
; SGPRBlocks: 2
; VGPRBlocks: 3
; NumSGPRsForWavesPerEU: 24
; NumVGPRsForWavesPerEU: 16
; Occupancy: 10
; WaveLimiterHint : 0
; COMPUTE_PGM_RSRC2:SCRATCH_EN: 0
; COMPUTE_PGM_RSRC2:USER_SGPR: 6
; COMPUTE_PGM_RSRC2:TRAP_HANDLER: 0
; COMPUTE_PGM_RSRC2:TGID_X_EN: 1
; COMPUTE_PGM_RSRC2:TGID_Y_EN: 0
; COMPUTE_PGM_RSRC2:TGID_Z_EN: 1
; COMPUTE_PGM_RSRC2:TIDIG_COMP_CNT: 0
	.section	.text._ZL27rocblas_axpy_kernel_batchedIiLi128ELi8E19rocblas_complex_numIfEPKS1_S3_PS1_EviT3_lT4_lT_lT5_lS7_li,"axG",@progbits,_ZL27rocblas_axpy_kernel_batchedIiLi128ELi8E19rocblas_complex_numIfEPKS1_S3_PS1_EviT3_lT4_lT_lT5_lS7_li,comdat
	.globl	_ZL27rocblas_axpy_kernel_batchedIiLi128ELi8E19rocblas_complex_numIfEPKS1_S3_PS1_EviT3_lT4_lT_lT5_lS7_li ; -- Begin function _ZL27rocblas_axpy_kernel_batchedIiLi128ELi8E19rocblas_complex_numIfEPKS1_S3_PS1_EviT3_lT4_lT_lT5_lS7_li
	.p2align	8
	.type	_ZL27rocblas_axpy_kernel_batchedIiLi128ELi8E19rocblas_complex_numIfEPKS1_S3_PS1_EviT3_lT4_lT_lT5_lS7_li,@function
_ZL27rocblas_axpy_kernel_batchedIiLi128ELi8E19rocblas_complex_numIfEPKS1_S3_PS1_EviT3_lT4_lT_lT5_lS7_li: ; @_ZL27rocblas_axpy_kernel_batchedIiLi128ELi8E19rocblas_complex_numIfEPKS1_S3_PS1_EviT3_lT4_lT_lT5_lS7_li
; %bb.0:
	s_load_dword s0, s[4:5], 0x0
	v_lshl_add_u32 v2, s6, 7, v0
	v_mov_b32_e32 v3, 0
	s_waitcnt lgkmcnt(0)
	s_ashr_i32 s1, s0, 31
	v_cmp_gt_i64_e32 vcc, s[0:1], v[2:3]
	s_and_saveexec_b64 s[0:1], vcc
	s_cbranch_execz .LBB32_13
; %bb.1:
	s_load_dword s20, s[4:5], 0x28
	s_load_dwordx8 s[8:15], s[4:5], 0x8
	s_load_dwordx4 s[0:3], s[4:5], 0x30
	s_load_dwordx2 s[18:19], s[4:5], 0x40
	s_load_dword s22, s[4:5], 0x48
	s_load_dwordx2 s[16:17], s[4:5], 0x50
	s_load_dword s6, s[4:5], 0x58
	s_waitcnt lgkmcnt(0)
	v_mad_u64_u32 v[3:4], s[4:5], s20, v2, 0
	v_mad_u64_u32 v[7:8], s[4:5], s22, v2, 0
	s_ashr_i32 s21, s20, 31
	v_mov_b32_e32 v0, v4
	v_mad_u64_u32 v[4:5], s[4:5], s21, v2, v[0:1]
	s_ashr_i32 s20, s22, 31
	v_mov_b32_e32 v0, v8
	v_mad_u64_u32 v[5:6], s[4:5], s20, v2, v[0:1]
	v_lshlrev_b32_e32 v0, 2, v1
	s_lshl_b64 s[4:5], s[14:15], 3
	v_lshl_add_u32 v6, s7, 5, v0
	s_add_u32 s4, s12, s4
	v_lshlrev_b64 v[0:1], 3, v[3:4]
	s_addc_u32 s5, s13, s5
	v_mov_b32_e32 v8, v5
	v_mov_b32_e32 v2, s5
	v_add_co_u32_e32 v4, vcc, s4, v0
	s_lshl_b64 s[4:5], s[18:19], 3
	v_addc_co_u32_e32 v5, vcc, v2, v1, vcc
	s_add_u32 s2, s2, s4
	v_lshlrev_b64 v[0:1], 3, v[7:8]
	s_addc_u32 s3, s3, s5
	v_mov_b32_e32 v3, s3
	v_add_co_u32_e32 v2, vcc, s2, v0
	v_addc_co_u32_e32 v3, vcc, v3, v1, vcc
	v_cmp_gt_u32_e32 vcc, s6, v6
	s_and_saveexec_b64 s[2:3], vcc
	s_cbranch_execz .LBB32_4
; %bb.2:
	v_mad_u64_u32 v[0:1], s[4:5], s10, v6, 0
	v_mad_u64_u32 v[7:8], s[4:5], s11, v6, v[1:2]
	v_mov_b32_e32 v8, s9
	v_mov_b32_e32 v1, v7
	v_lshlrev_b64 v[0:1], 3, v[0:1]
	v_add_co_u32_e32 v0, vcc, s8, v0
	v_addc_co_u32_e32 v1, vcc, v8, v1, vcc
	global_load_dwordx2 v[0:1], v[0:1], off
	s_waitcnt vmcnt(0)
	v_or_b32_e32 v7, v0, v1
	v_and_b32_e32 v7, 0x7fffffff, v7
	v_cmp_ne_u32_e32 vcc, 0, v7
	s_and_b64 exec, exec, vcc
	s_cbranch_execz .LBB32_4
; %bb.3:
	v_mad_u64_u32 v[7:8], s[4:5], s0, v6, 0
	v_mad_u64_u32 v[9:10], s[4:5], s16, v6, 0
	;; [unrolled: 1-line block ×3, first 2 shown]
	v_mov_b32_e32 v8, v11
	v_mad_u64_u32 v[10:11], s[4:5], s17, v6, v[10:11]
	v_lshlrev_b64 v[7:8], 3, v[7:8]
	v_add_co_u32_e32 v7, vcc, v4, v7
	v_lshlrev_b64 v[9:10], 3, v[9:10]
	v_addc_co_u32_e32 v8, vcc, v5, v8, vcc
	global_load_dwordx2 v[7:8], v[7:8], off
	v_add_co_u32_e32 v9, vcc, v2, v9
	v_addc_co_u32_e32 v10, vcc, v3, v10, vcc
	global_load_dwordx2 v[11:12], v[9:10], off
	s_waitcnt vmcnt(1)
	v_mul_f32_e32 v13, v8, v1
	v_mul_f32_e32 v8, v8, v0
	v_fma_f32 v0, v7, v0, -v13
	v_fmac_f32_e32 v8, v7, v1
	s_waitcnt vmcnt(0)
	v_add_f32_e32 v0, v0, v11
	v_add_f32_e32 v1, v8, v12
	global_store_dwordx2 v[9:10], v[0:1], off
.LBB32_4:
	s_or_b64 exec, exec, s[2:3]
	v_or_b32_e32 v7, 1, v6
	v_cmp_gt_u32_e32 vcc, s6, v7
	s_and_saveexec_b64 s[2:3], vcc
	s_cbranch_execz .LBB32_7
; %bb.5:
	v_mad_u64_u32 v[0:1], s[4:5], s10, v7, 0
	v_mad_u64_u32 v[8:9], s[4:5], s11, v7, v[1:2]
	v_mov_b32_e32 v9, s9
	v_mov_b32_e32 v1, v8
	v_lshlrev_b64 v[0:1], 3, v[0:1]
	v_add_co_u32_e32 v0, vcc, s8, v0
	v_addc_co_u32_e32 v1, vcc, v9, v1, vcc
	global_load_dwordx2 v[0:1], v[0:1], off
	s_waitcnt vmcnt(0)
	v_or_b32_e32 v8, v0, v1
	v_and_b32_e32 v8, 0x7fffffff, v8
	v_cmp_ne_u32_e32 vcc, 0, v8
	s_and_b64 exec, exec, vcc
	s_cbranch_execz .LBB32_7
; %bb.6:
	v_mad_u64_u32 v[8:9], s[4:5], s0, v7, 0
	v_mad_u64_u32 v[10:11], s[4:5], s16, v7, 0
	;; [unrolled: 1-line block ×3, first 2 shown]
	v_mov_b32_e32 v9, v12
	v_mad_u64_u32 v[11:12], s[4:5], s17, v7, v[11:12]
	v_lshlrev_b64 v[8:9], 3, v[8:9]
	v_add_co_u32_e32 v7, vcc, v4, v8
	v_addc_co_u32_e32 v8, vcc, v5, v9, vcc
	v_lshlrev_b64 v[9:10], 3, v[10:11]
	global_load_dwordx2 v[7:8], v[7:8], off
	v_add_co_u32_e32 v9, vcc, v2, v9
	v_addc_co_u32_e32 v10, vcc, v3, v10, vcc
	global_load_dwordx2 v[11:12], v[9:10], off
	s_waitcnt vmcnt(1)
	v_mul_f32_e32 v13, v8, v1
	v_mul_f32_e32 v8, v8, v0
	v_fma_f32 v0, v7, v0, -v13
	v_fmac_f32_e32 v8, v7, v1
	s_waitcnt vmcnt(0)
	v_add_f32_e32 v0, v0, v11
	v_add_f32_e32 v1, v8, v12
	global_store_dwordx2 v[9:10], v[0:1], off
.LBB32_7:
	s_or_b64 exec, exec, s[2:3]
	v_or_b32_e32 v7, 2, v6
	v_cmp_gt_u32_e32 vcc, s6, v7
	s_and_saveexec_b64 s[2:3], vcc
	s_cbranch_execz .LBB32_10
; %bb.8:
	v_mad_u64_u32 v[0:1], s[4:5], s10, v7, 0
	v_mad_u64_u32 v[8:9], s[4:5], s11, v7, v[1:2]
	v_mov_b32_e32 v9, s9
	v_mov_b32_e32 v1, v8
	v_lshlrev_b64 v[0:1], 3, v[0:1]
	v_add_co_u32_e32 v0, vcc, s8, v0
	v_addc_co_u32_e32 v1, vcc, v9, v1, vcc
	global_load_dwordx2 v[0:1], v[0:1], off
	s_waitcnt vmcnt(0)
	v_or_b32_e32 v8, v0, v1
	v_and_b32_e32 v8, 0x7fffffff, v8
	v_cmp_ne_u32_e32 vcc, 0, v8
	s_and_b64 exec, exec, vcc
	s_cbranch_execz .LBB32_10
; %bb.9:
	v_mad_u64_u32 v[8:9], s[4:5], s0, v7, 0
	v_mad_u64_u32 v[10:11], s[4:5], s16, v7, 0
	;; [unrolled: 1-line block ×3, first 2 shown]
	v_mov_b32_e32 v9, v12
	v_mad_u64_u32 v[11:12], s[4:5], s17, v7, v[11:12]
	v_lshlrev_b64 v[8:9], 3, v[8:9]
	v_add_co_u32_e32 v7, vcc, v4, v8
	v_addc_co_u32_e32 v8, vcc, v5, v9, vcc
	v_lshlrev_b64 v[9:10], 3, v[10:11]
	global_load_dwordx2 v[7:8], v[7:8], off
	v_add_co_u32_e32 v9, vcc, v2, v9
	v_addc_co_u32_e32 v10, vcc, v3, v10, vcc
	global_load_dwordx2 v[11:12], v[9:10], off
	s_waitcnt vmcnt(1)
	v_mul_f32_e32 v13, v8, v1
	v_mul_f32_e32 v8, v8, v0
	v_fma_f32 v0, v7, v0, -v13
	v_fmac_f32_e32 v8, v7, v1
	s_waitcnt vmcnt(0)
	v_add_f32_e32 v0, v0, v11
	v_add_f32_e32 v1, v8, v12
	global_store_dwordx2 v[9:10], v[0:1], off
.LBB32_10:
	s_or_b64 exec, exec, s[2:3]
	v_or_b32_e32 v6, 3, v6
	v_cmp_gt_u32_e32 vcc, s6, v6
	s_and_b64 exec, exec, vcc
	s_cbranch_execz .LBB32_13
; %bb.11:
	v_mad_u64_u32 v[0:1], s[2:3], s10, v6, 0
	v_mad_u64_u32 v[7:8], s[2:3], s11, v6, v[1:2]
	v_mov_b32_e32 v8, s9
	v_mov_b32_e32 v1, v7
	v_lshlrev_b64 v[0:1], 3, v[0:1]
	v_add_co_u32_e32 v0, vcc, s8, v0
	v_addc_co_u32_e32 v1, vcc, v8, v1, vcc
	global_load_dwordx2 v[0:1], v[0:1], off
	s_waitcnt vmcnt(0)
	v_or_b32_e32 v7, v0, v1
	v_and_b32_e32 v7, 0x7fffffff, v7
	v_cmp_ne_u32_e32 vcc, 0, v7
	s_and_b64 exec, exec, vcc
	s_cbranch_execz .LBB32_13
; %bb.12:
	v_mad_u64_u32 v[7:8], s[2:3], s0, v6, 0
	v_mad_u64_u32 v[9:10], s[2:3], s16, v6, 0
	;; [unrolled: 1-line block ×3, first 2 shown]
	v_mov_b32_e32 v8, v11
	v_mad_u64_u32 v[10:11], s[0:1], s17, v6, v[10:11]
	v_lshlrev_b64 v[7:8], 3, v[7:8]
	v_add_co_u32_e32 v4, vcc, v4, v7
	v_lshlrev_b64 v[6:7], 3, v[9:10]
	v_addc_co_u32_e32 v5, vcc, v5, v8, vcc
	global_load_dwordx2 v[4:5], v[4:5], off
	v_add_co_u32_e32 v2, vcc, v2, v6
	v_addc_co_u32_e32 v3, vcc, v3, v7, vcc
	global_load_dwordx2 v[6:7], v[2:3], off
	s_waitcnt vmcnt(1)
	v_mul_f32_e32 v8, v5, v1
	v_mul_f32_e32 v5, v5, v0
	v_fma_f32 v0, v4, v0, -v8
	v_fmac_f32_e32 v5, v4, v1
	s_waitcnt vmcnt(0)
	v_add_f32_e32 v0, v0, v6
	v_add_f32_e32 v1, v5, v7
	global_store_dwordx2 v[2:3], v[0:1], off
.LBB32_13:
	s_endpgm
	.section	.rodata,"a",@progbits
	.p2align	6, 0x0
	.amdhsa_kernel _ZL27rocblas_axpy_kernel_batchedIiLi128ELi8E19rocblas_complex_numIfEPKS1_S3_PS1_EviT3_lT4_lT_lT5_lS7_li
		.amdhsa_group_segment_fixed_size 0
		.amdhsa_private_segment_fixed_size 0
		.amdhsa_kernarg_size 92
		.amdhsa_user_sgpr_count 6
		.amdhsa_user_sgpr_private_segment_buffer 1
		.amdhsa_user_sgpr_dispatch_ptr 0
		.amdhsa_user_sgpr_queue_ptr 0
		.amdhsa_user_sgpr_kernarg_segment_ptr 1
		.amdhsa_user_sgpr_dispatch_id 0
		.amdhsa_user_sgpr_flat_scratch_init 0
		.amdhsa_user_sgpr_private_segment_size 0
		.amdhsa_uses_dynamic_stack 0
		.amdhsa_system_sgpr_private_segment_wavefront_offset 0
		.amdhsa_system_sgpr_workgroup_id_x 1
		.amdhsa_system_sgpr_workgroup_id_y 0
		.amdhsa_system_sgpr_workgroup_id_z 1
		.amdhsa_system_sgpr_workgroup_info 0
		.amdhsa_system_vgpr_workitem_id 1
		.amdhsa_next_free_vgpr 14
		.amdhsa_next_free_sgpr 23
		.amdhsa_reserve_vcc 1
		.amdhsa_reserve_flat_scratch 0
		.amdhsa_float_round_mode_32 0
		.amdhsa_float_round_mode_16_64 0
		.amdhsa_float_denorm_mode_32 3
		.amdhsa_float_denorm_mode_16_64 3
		.amdhsa_dx10_clamp 1
		.amdhsa_ieee_mode 1
		.amdhsa_fp16_overflow 0
		.amdhsa_exception_fp_ieee_invalid_op 0
		.amdhsa_exception_fp_denorm_src 0
		.amdhsa_exception_fp_ieee_div_zero 0
		.amdhsa_exception_fp_ieee_overflow 0
		.amdhsa_exception_fp_ieee_underflow 0
		.amdhsa_exception_fp_ieee_inexact 0
		.amdhsa_exception_int_div_zero 0
	.end_amdhsa_kernel
	.section	.text._ZL27rocblas_axpy_kernel_batchedIiLi128ELi8E19rocblas_complex_numIfEPKS1_S3_PS1_EviT3_lT4_lT_lT5_lS7_li,"axG",@progbits,_ZL27rocblas_axpy_kernel_batchedIiLi128ELi8E19rocblas_complex_numIfEPKS1_S3_PS1_EviT3_lT4_lT_lT5_lS7_li,comdat
.Lfunc_end32:
	.size	_ZL27rocblas_axpy_kernel_batchedIiLi128ELi8E19rocblas_complex_numIfEPKS1_S3_PS1_EviT3_lT4_lT_lT5_lS7_li, .Lfunc_end32-_ZL27rocblas_axpy_kernel_batchedIiLi128ELi8E19rocblas_complex_numIfEPKS1_S3_PS1_EviT3_lT4_lT_lT5_lS7_li
                                        ; -- End function
	.set _ZL27rocblas_axpy_kernel_batchedIiLi128ELi8E19rocblas_complex_numIfEPKS1_S3_PS1_EviT3_lT4_lT_lT5_lS7_li.num_vgpr, 14
	.set _ZL27rocblas_axpy_kernel_batchedIiLi128ELi8E19rocblas_complex_numIfEPKS1_S3_PS1_EviT3_lT4_lT_lT5_lS7_li.num_agpr, 0
	.set _ZL27rocblas_axpy_kernel_batchedIiLi128ELi8E19rocblas_complex_numIfEPKS1_S3_PS1_EviT3_lT4_lT_lT5_lS7_li.numbered_sgpr, 23
	.set _ZL27rocblas_axpy_kernel_batchedIiLi128ELi8E19rocblas_complex_numIfEPKS1_S3_PS1_EviT3_lT4_lT_lT5_lS7_li.num_named_barrier, 0
	.set _ZL27rocblas_axpy_kernel_batchedIiLi128ELi8E19rocblas_complex_numIfEPKS1_S3_PS1_EviT3_lT4_lT_lT5_lS7_li.private_seg_size, 0
	.set _ZL27rocblas_axpy_kernel_batchedIiLi128ELi8E19rocblas_complex_numIfEPKS1_S3_PS1_EviT3_lT4_lT_lT5_lS7_li.uses_vcc, 1
	.set _ZL27rocblas_axpy_kernel_batchedIiLi128ELi8E19rocblas_complex_numIfEPKS1_S3_PS1_EviT3_lT4_lT_lT5_lS7_li.uses_flat_scratch, 0
	.set _ZL27rocblas_axpy_kernel_batchedIiLi128ELi8E19rocblas_complex_numIfEPKS1_S3_PS1_EviT3_lT4_lT_lT5_lS7_li.has_dyn_sized_stack, 0
	.set _ZL27rocblas_axpy_kernel_batchedIiLi128ELi8E19rocblas_complex_numIfEPKS1_S3_PS1_EviT3_lT4_lT_lT5_lS7_li.has_recursion, 0
	.set _ZL27rocblas_axpy_kernel_batchedIiLi128ELi8E19rocblas_complex_numIfEPKS1_S3_PS1_EviT3_lT4_lT_lT5_lS7_li.has_indirect_call, 0
	.section	.AMDGPU.csdata,"",@progbits
; Kernel info:
; codeLenInByte = 1120
; TotalNumSgprs: 27
; NumVgprs: 14
; ScratchSize: 0
; MemoryBound: 0
; FloatMode: 240
; IeeeMode: 1
; LDSByteSize: 0 bytes/workgroup (compile time only)
; SGPRBlocks: 3
; VGPRBlocks: 3
; NumSGPRsForWavesPerEU: 27
; NumVGPRsForWavesPerEU: 14
; Occupancy: 10
; WaveLimiterHint : 0
; COMPUTE_PGM_RSRC2:SCRATCH_EN: 0
; COMPUTE_PGM_RSRC2:USER_SGPR: 6
; COMPUTE_PGM_RSRC2:TRAP_HANDLER: 0
; COMPUTE_PGM_RSRC2:TGID_X_EN: 1
; COMPUTE_PGM_RSRC2:TGID_Y_EN: 0
; COMPUTE_PGM_RSRC2:TGID_Z_EN: 1
; COMPUTE_PGM_RSRC2:TIDIG_COMP_CNT: 1
	.section	.text._ZL27rocblas_axpy_kernel_batchedIiLi128ELi8E19rocblas_complex_numIfES1_PKS1_PS1_EviT3_lT4_lT_lT5_lS7_li,"axG",@progbits,_ZL27rocblas_axpy_kernel_batchedIiLi128ELi8E19rocblas_complex_numIfES1_PKS1_PS1_EviT3_lT4_lT_lT5_lS7_li,comdat
	.globl	_ZL27rocblas_axpy_kernel_batchedIiLi128ELi8E19rocblas_complex_numIfES1_PKS1_PS1_EviT3_lT4_lT_lT5_lS7_li ; -- Begin function _ZL27rocblas_axpy_kernel_batchedIiLi128ELi8E19rocblas_complex_numIfES1_PKS1_PS1_EviT3_lT4_lT_lT5_lS7_li
	.p2align	8
	.type	_ZL27rocblas_axpy_kernel_batchedIiLi128ELi8E19rocblas_complex_numIfES1_PKS1_PS1_EviT3_lT4_lT_lT5_lS7_li,@function
_ZL27rocblas_axpy_kernel_batchedIiLi128ELi8E19rocblas_complex_numIfES1_PKS1_PS1_EviT3_lT4_lT_lT5_lS7_li: ; @_ZL27rocblas_axpy_kernel_batchedIiLi128ELi8E19rocblas_complex_numIfES1_PKS1_PS1_EviT3_lT4_lT_lT5_lS7_li
; %bb.0:
	s_load_dword s0, s[4:5], 0x0
	v_lshl_add_u32 v2, s6, 7, v0
	v_mov_b32_e32 v3, 0
	s_waitcnt lgkmcnt(0)
	s_ashr_i32 s1, s0, 31
	v_cmp_gt_i64_e32 vcc, s[0:1], v[2:3]
	s_and_saveexec_b64 s[0:1], vcc
	s_cbranch_execz .LBB33_9
; %bb.1:
	s_load_dword s18, s[4:5], 0x28
	s_load_dwordx2 s[8:9], s[4:5], 0x4
	s_load_dwordx4 s[12:15], s[4:5], 0x18
	s_load_dwordx4 s[0:3], s[4:5], 0x30
	s_load_dwordx2 s[16:17], s[4:5], 0x40
	s_load_dword s20, s[4:5], 0x48
	s_load_dwordx2 s[10:11], s[4:5], 0x50
	s_load_dword s6, s[4:5], 0x58
	s_waitcnt lgkmcnt(0)
	v_mad_u64_u32 v[5:6], s[4:5], s18, v2, 0
	v_mad_u64_u32 v[7:8], s[4:5], s20, v2, 0
	s_ashr_i32 s19, s18, 31
	v_mov_b32_e32 v0, v6
	v_mad_u64_u32 v[3:4], s[4:5], s19, v2, v[0:1]
	s_ashr_i32 s18, s20, 31
	v_mov_b32_e32 v0, v8
	v_mad_u64_u32 v[8:9], s[4:5], s18, v2, v[0:1]
	v_lshlrev_b32_e32 v0, 2, v1
	v_mov_b32_e32 v6, v3
	s_lshl_b64 s[4:5], s[14:15], 3
	v_lshl_add_u32 v4, s7, 5, v0
	s_add_u32 s4, s12, s4
	v_lshlrev_b64 v[0:1], 3, v[5:6]
	s_addc_u32 s5, s13, s5
	v_mov_b32_e32 v3, s5
	v_add_co_u32_e32 v2, vcc, s4, v0
	v_addc_co_u32_e32 v3, vcc, v3, v1, vcc
	s_lshl_b64 s[4:5], s[16:17], 3
	v_lshlrev_b64 v[0:1], 3, v[7:8]
	s_add_u32 s2, s2, s4
	s_addc_u32 s3, s3, s5
	v_add_co_u32_e32 v0, vcc, s2, v0
	s_or_b32 s2, s8, s9
	s_and_b32 s4, s2, 0x7fffffff
	v_mov_b32_e32 v5, s3
	s_cmp_eq_u32 s4, 0
	v_addc_co_u32_e32 v1, vcc, v5, v1, vcc
	s_cselect_b64 s[2:3], -1, 0
	s_cmp_lg_u32 s4, 0
	s_cselect_b64 s[4:5], -1, 0
	v_cmp_gt_u32_e32 vcc, s6, v4
	s_and_b64 s[12:13], vcc, s[4:5]
	s_and_saveexec_b64 s[4:5], s[12:13]
	s_cbranch_execz .LBB33_3
; %bb.2:
	v_mad_u64_u32 v[5:6], s[12:13], s0, v4, 0
	v_mad_u64_u32 v[7:8], s[12:13], s10, v4, 0
	;; [unrolled: 1-line block ×3, first 2 shown]
	v_mov_b32_e32 v6, v9
	v_mad_u64_u32 v[8:9], s[12:13], s11, v4, v[8:9]
	v_lshlrev_b64 v[5:6], 3, v[5:6]
	v_add_co_u32_e32 v5, vcc, v2, v5
	v_lshlrev_b64 v[7:8], 3, v[7:8]
	v_addc_co_u32_e32 v6, vcc, v3, v6, vcc
	global_load_dwordx2 v[5:6], v[5:6], off
	v_add_co_u32_e32 v7, vcc, v0, v7
	v_addc_co_u32_e32 v8, vcc, v1, v8, vcc
	global_load_dwordx2 v[9:10], v[7:8], off
	s_waitcnt vmcnt(1)
	v_mul_f32_e32 v11, s9, v6
	v_mul_f32_e32 v6, s8, v6
	v_fma_f32 v11, v5, s8, -v11
	v_fmac_f32_e32 v6, s9, v5
	s_waitcnt vmcnt(0)
	v_add_f32_e32 v5, v11, v9
	v_add_f32_e32 v6, v6, v10
	global_store_dwordx2 v[7:8], v[5:6], off
.LBB33_3:
	s_or_b64 exec, exec, s[4:5]
	v_or_b32_e32 v5, 1, v4
	v_cmp_gt_u32_e32 vcc, s6, v5
	s_xor_b64 s[2:3], s[2:3], -1
	s_and_b64 s[12:13], vcc, s[2:3]
	s_and_saveexec_b64 s[4:5], s[12:13]
	s_cbranch_execz .LBB33_5
; %bb.4:
	v_mad_u64_u32 v[6:7], s[12:13], s0, v5, 0
	v_mad_u64_u32 v[8:9], s[12:13], s10, v5, 0
	;; [unrolled: 1-line block ×3, first 2 shown]
	v_mov_b32_e32 v7, v10
	v_mad_u64_u32 v[9:10], s[12:13], s11, v5, v[9:10]
	v_lshlrev_b64 v[6:7], 3, v[6:7]
	v_add_co_u32_e32 v5, vcc, v2, v6
	v_addc_co_u32_e32 v6, vcc, v3, v7, vcc
	v_lshlrev_b64 v[7:8], 3, v[8:9]
	global_load_dwordx2 v[5:6], v[5:6], off
	v_add_co_u32_e32 v7, vcc, v0, v7
	v_addc_co_u32_e32 v8, vcc, v1, v8, vcc
	global_load_dwordx2 v[9:10], v[7:8], off
	s_waitcnt vmcnt(1)
	v_mul_f32_e32 v11, s9, v6
	v_mul_f32_e32 v6, s8, v6
	v_fma_f32 v11, v5, s8, -v11
	v_fmac_f32_e32 v6, s9, v5
	s_waitcnt vmcnt(0)
	v_add_f32_e32 v5, v11, v9
	v_add_f32_e32 v6, v6, v10
	global_store_dwordx2 v[7:8], v[5:6], off
.LBB33_5:
	s_or_b64 exec, exec, s[4:5]
	v_or_b32_e32 v5, 2, v4
	v_cmp_gt_u32_e32 vcc, s6, v5
	s_and_b64 s[12:13], vcc, s[2:3]
	s_and_saveexec_b64 s[4:5], s[12:13]
	s_cbranch_execz .LBB33_7
; %bb.6:
	v_mad_u64_u32 v[6:7], s[12:13], s0, v5, 0
	v_mad_u64_u32 v[8:9], s[12:13], s10, v5, 0
	;; [unrolled: 1-line block ×3, first 2 shown]
	v_mov_b32_e32 v7, v10
	v_mad_u64_u32 v[9:10], s[12:13], s11, v5, v[9:10]
	v_lshlrev_b64 v[6:7], 3, v[6:7]
	v_add_co_u32_e32 v5, vcc, v2, v6
	v_addc_co_u32_e32 v6, vcc, v3, v7, vcc
	v_lshlrev_b64 v[7:8], 3, v[8:9]
	global_load_dwordx2 v[5:6], v[5:6], off
	v_add_co_u32_e32 v7, vcc, v0, v7
	v_addc_co_u32_e32 v8, vcc, v1, v8, vcc
	global_load_dwordx2 v[9:10], v[7:8], off
	s_waitcnt vmcnt(1)
	v_mul_f32_e32 v11, s9, v6
	v_mul_f32_e32 v6, s8, v6
	v_fma_f32 v11, v5, s8, -v11
	v_fmac_f32_e32 v6, s9, v5
	s_waitcnt vmcnt(0)
	v_add_f32_e32 v5, v11, v9
	v_add_f32_e32 v6, v6, v10
	global_store_dwordx2 v[7:8], v[5:6], off
.LBB33_7:
	s_or_b64 exec, exec, s[4:5]
	v_or_b32_e32 v4, 3, v4
	v_cmp_gt_u32_e32 vcc, s6, v4
	s_and_b64 s[2:3], vcc, s[2:3]
	s_and_b64 exec, exec, s[2:3]
	s_cbranch_execz .LBB33_9
; %bb.8:
	v_mad_u64_u32 v[5:6], s[2:3], s0, v4, 0
	v_mad_u64_u32 v[7:8], s[2:3], s10, v4, 0
	;; [unrolled: 1-line block ×3, first 2 shown]
	v_mov_b32_e32 v6, v9
	v_mad_u64_u32 v[8:9], s[0:1], s11, v4, v[8:9]
	v_lshlrev_b64 v[5:6], 3, v[5:6]
	v_add_co_u32_e32 v2, vcc, v2, v5
	v_lshlrev_b64 v[4:5], 3, v[7:8]
	v_addc_co_u32_e32 v3, vcc, v3, v6, vcc
	global_load_dwordx2 v[2:3], v[2:3], off
	v_add_co_u32_e32 v0, vcc, v0, v4
	v_addc_co_u32_e32 v1, vcc, v1, v5, vcc
	global_load_dwordx2 v[4:5], v[0:1], off
	s_waitcnt vmcnt(1)
	v_mul_f32_e32 v6, s9, v3
	v_mul_f32_e32 v3, s8, v3
	v_fma_f32 v6, v2, s8, -v6
	v_fmac_f32_e32 v3, s9, v2
	s_waitcnt vmcnt(0)
	v_add_f32_e32 v2, v6, v4
	v_add_f32_e32 v3, v3, v5
	global_store_dwordx2 v[0:1], v[2:3], off
.LBB33_9:
	s_endpgm
	.section	.rodata,"a",@progbits
	.p2align	6, 0x0
	.amdhsa_kernel _ZL27rocblas_axpy_kernel_batchedIiLi128ELi8E19rocblas_complex_numIfES1_PKS1_PS1_EviT3_lT4_lT_lT5_lS7_li
		.amdhsa_group_segment_fixed_size 0
		.amdhsa_private_segment_fixed_size 0
		.amdhsa_kernarg_size 92
		.amdhsa_user_sgpr_count 6
		.amdhsa_user_sgpr_private_segment_buffer 1
		.amdhsa_user_sgpr_dispatch_ptr 0
		.amdhsa_user_sgpr_queue_ptr 0
		.amdhsa_user_sgpr_kernarg_segment_ptr 1
		.amdhsa_user_sgpr_dispatch_id 0
		.amdhsa_user_sgpr_flat_scratch_init 0
		.amdhsa_user_sgpr_private_segment_size 0
		.amdhsa_uses_dynamic_stack 0
		.amdhsa_system_sgpr_private_segment_wavefront_offset 0
		.amdhsa_system_sgpr_workgroup_id_x 1
		.amdhsa_system_sgpr_workgroup_id_y 0
		.amdhsa_system_sgpr_workgroup_id_z 1
		.amdhsa_system_sgpr_workgroup_info 0
		.amdhsa_system_vgpr_workitem_id 1
		.amdhsa_next_free_vgpr 12
		.amdhsa_next_free_sgpr 21
		.amdhsa_reserve_vcc 1
		.amdhsa_reserve_flat_scratch 0
		.amdhsa_float_round_mode_32 0
		.amdhsa_float_round_mode_16_64 0
		.amdhsa_float_denorm_mode_32 3
		.amdhsa_float_denorm_mode_16_64 3
		.amdhsa_dx10_clamp 1
		.amdhsa_ieee_mode 1
		.amdhsa_fp16_overflow 0
		.amdhsa_exception_fp_ieee_invalid_op 0
		.amdhsa_exception_fp_denorm_src 0
		.amdhsa_exception_fp_ieee_div_zero 0
		.amdhsa_exception_fp_ieee_overflow 0
		.amdhsa_exception_fp_ieee_underflow 0
		.amdhsa_exception_fp_ieee_inexact 0
		.amdhsa_exception_int_div_zero 0
	.end_amdhsa_kernel
	.section	.text._ZL27rocblas_axpy_kernel_batchedIiLi128ELi8E19rocblas_complex_numIfES1_PKS1_PS1_EviT3_lT4_lT_lT5_lS7_li,"axG",@progbits,_ZL27rocblas_axpy_kernel_batchedIiLi128ELi8E19rocblas_complex_numIfES1_PKS1_PS1_EviT3_lT4_lT_lT5_lS7_li,comdat
.Lfunc_end33:
	.size	_ZL27rocblas_axpy_kernel_batchedIiLi128ELi8E19rocblas_complex_numIfES1_PKS1_PS1_EviT3_lT4_lT_lT5_lS7_li, .Lfunc_end33-_ZL27rocblas_axpy_kernel_batchedIiLi128ELi8E19rocblas_complex_numIfES1_PKS1_PS1_EviT3_lT4_lT_lT5_lS7_li
                                        ; -- End function
	.set _ZL27rocblas_axpy_kernel_batchedIiLi128ELi8E19rocblas_complex_numIfES1_PKS1_PS1_EviT3_lT4_lT_lT5_lS7_li.num_vgpr, 12
	.set _ZL27rocblas_axpy_kernel_batchedIiLi128ELi8E19rocblas_complex_numIfES1_PKS1_PS1_EviT3_lT4_lT_lT5_lS7_li.num_agpr, 0
	.set _ZL27rocblas_axpy_kernel_batchedIiLi128ELi8E19rocblas_complex_numIfES1_PKS1_PS1_EviT3_lT4_lT_lT5_lS7_li.numbered_sgpr, 21
	.set _ZL27rocblas_axpy_kernel_batchedIiLi128ELi8E19rocblas_complex_numIfES1_PKS1_PS1_EviT3_lT4_lT_lT5_lS7_li.num_named_barrier, 0
	.set _ZL27rocblas_axpy_kernel_batchedIiLi128ELi8E19rocblas_complex_numIfES1_PKS1_PS1_EviT3_lT4_lT_lT5_lS7_li.private_seg_size, 0
	.set _ZL27rocblas_axpy_kernel_batchedIiLi128ELi8E19rocblas_complex_numIfES1_PKS1_PS1_EviT3_lT4_lT_lT5_lS7_li.uses_vcc, 1
	.set _ZL27rocblas_axpy_kernel_batchedIiLi128ELi8E19rocblas_complex_numIfES1_PKS1_PS1_EviT3_lT4_lT_lT5_lS7_li.uses_flat_scratch, 0
	.set _ZL27rocblas_axpy_kernel_batchedIiLi128ELi8E19rocblas_complex_numIfES1_PKS1_PS1_EviT3_lT4_lT_lT5_lS7_li.has_dyn_sized_stack, 0
	.set _ZL27rocblas_axpy_kernel_batchedIiLi128ELi8E19rocblas_complex_numIfES1_PKS1_PS1_EviT3_lT4_lT_lT5_lS7_li.has_recursion, 0
	.set _ZL27rocblas_axpy_kernel_batchedIiLi128ELi8E19rocblas_complex_numIfES1_PKS1_PS1_EviT3_lT4_lT_lT5_lS7_li.has_indirect_call, 0
	.section	.AMDGPU.csdata,"",@progbits
; Kernel info:
; codeLenInByte = 872
; TotalNumSgprs: 25
; NumVgprs: 12
; ScratchSize: 0
; MemoryBound: 0
; FloatMode: 240
; IeeeMode: 1
; LDSByteSize: 0 bytes/workgroup (compile time only)
; SGPRBlocks: 3
; VGPRBlocks: 2
; NumSGPRsForWavesPerEU: 25
; NumVGPRsForWavesPerEU: 12
; Occupancy: 10
; WaveLimiterHint : 1
; COMPUTE_PGM_RSRC2:SCRATCH_EN: 0
; COMPUTE_PGM_RSRC2:USER_SGPR: 6
; COMPUTE_PGM_RSRC2:TRAP_HANDLER: 0
; COMPUTE_PGM_RSRC2:TGID_X_EN: 1
; COMPUTE_PGM_RSRC2:TGID_Y_EN: 0
; COMPUTE_PGM_RSRC2:TGID_Z_EN: 1
; COMPUTE_PGM_RSRC2:TIDIG_COMP_CNT: 1
	.section	.text._ZL19rocblas_axpy_kernelIiLi256E19rocblas_complex_numIfEPKS1_S3_PS1_EviT2_lT3_lT_lT4_lS7_li,"axG",@progbits,_ZL19rocblas_axpy_kernelIiLi256E19rocblas_complex_numIfEPKS1_S3_PS1_EviT2_lT3_lT_lT4_lS7_li,comdat
	.globl	_ZL19rocblas_axpy_kernelIiLi256E19rocblas_complex_numIfEPKS1_S3_PS1_EviT2_lT3_lT_lT4_lS7_li ; -- Begin function _ZL19rocblas_axpy_kernelIiLi256E19rocblas_complex_numIfEPKS1_S3_PS1_EviT2_lT3_lT_lT4_lS7_li
	.p2align	8
	.type	_ZL19rocblas_axpy_kernelIiLi256E19rocblas_complex_numIfEPKS1_S3_PS1_EviT2_lT3_lT_lT4_lS7_li,@function
_ZL19rocblas_axpy_kernelIiLi256E19rocblas_complex_numIfEPKS1_S3_PS1_EviT2_lT3_lT_lT4_lS7_li: ; @_ZL19rocblas_axpy_kernelIiLi256E19rocblas_complex_numIfEPKS1_S3_PS1_EviT2_lT3_lT_lT4_lS7_li
; %bb.0:
	s_load_dword s10, s[4:5], 0x0
	s_load_dwordx4 s[0:3], s[4:5], 0x8
	v_lshl_or_b32 v0, s6, 8, v0
	v_mov_b32_e32 v1, 0
	s_waitcnt lgkmcnt(0)
	s_ashr_i32 s11, s10, 31
	s_mul_i32 s3, s3, s7
	s_mul_hi_u32 s8, s2, s7
	s_add_i32 s3, s8, s3
	s_mul_i32 s2, s2, s7
	s_lshl_b64 s[2:3], s[2:3], 3
	s_add_u32 s0, s0, s2
	s_addc_u32 s1, s1, s3
	s_load_dwordx2 s[8:9], s[0:1], 0x0
	v_cmp_gt_i64_e32 vcc, s[10:11], v[0:1]
	s_waitcnt lgkmcnt(0)
	s_or_b32 s0, s8, s9
	s_bitset0_b32 s0, 31
	s_cmp_lg_u32 s0, 0
	s_cselect_b64 s[0:1], -1, 0
	s_and_b64 s[0:1], vcc, s[0:1]
	s_and_saveexec_b64 s[2:3], s[0:1]
	s_cbranch_execz .LBB34_2
; %bb.1:
	s_load_dword s6, s[4:5], 0x28
	s_load_dwordx4 s[12:15], s[4:5], 0x18
	s_waitcnt lgkmcnt(0)
	v_mad_u64_u32 v[1:2], s[0:1], s6, v0, 0
	s_load_dwordx4 s[0:3], s[4:5], 0x30
	s_load_dwordx2 s[10:11], s[4:5], 0x40
	s_load_dword s18, s[4:5], 0x48
	s_ashr_i32 s6, s6, 31
	v_mad_u64_u32 v[2:3], s[16:17], s6, v0, v[2:3]
	s_waitcnt lgkmcnt(0)
	s_mul_i32 s1, s1, s7
	s_mul_hi_u32 s16, s0, s7
	s_add_i32 s1, s16, s1
	s_mul_i32 s0, s0, s7
	s_ashr_i32 s6, s18, 31
	s_lshl_b64 s[0:1], s[0:1], 3
	s_add_u32 s12, s12, s0
	s_addc_u32 s16, s13, s1
	s_lshl_b64 s[0:1], s[14:15], 3
	s_load_dwordx2 s[4:5], s[4:5], 0x50
	s_add_u32 s14, s12, s0
	v_mad_u64_u32 v[3:4], s[12:13], s18, v0, 0
	s_addc_u32 s0, s16, s1
	v_mov_b32_e32 v6, s0
	v_mad_u64_u32 v[4:5], s[0:1], s6, v0, v[4:5]
	s_waitcnt lgkmcnt(0)
	s_mul_i32 s0, s5, s7
	s_mul_hi_u32 s1, s4, s7
	s_add_i32 s1, s1, s0
	s_mul_i32 s0, s4, s7
	v_lshlrev_b64 v[1:2], 3, v[1:2]
	s_lshl_b64 s[0:1], s[0:1], 3
	s_add_u32 s2, s2, s0
	v_add_co_u32_e32 v0, vcc, s14, v1
	s_addc_u32 s3, s3, s1
	s_lshl_b64 s[0:1], s[10:11], 3
	v_addc_co_u32_e32 v1, vcc, v6, v2, vcc
	s_add_u32 s0, s2, s0
	v_lshlrev_b64 v[2:3], 3, v[3:4]
	s_addc_u32 s1, s3, s1
	v_mov_b32_e32 v4, s1
	global_load_dwordx2 v[0:1], v[0:1], off
	v_add_co_u32_e32 v2, vcc, s0, v2
	v_addc_co_u32_e32 v3, vcc, v4, v3, vcc
	global_load_dwordx2 v[4:5], v[2:3], off
	s_waitcnt vmcnt(1)
	v_mul_f32_e32 v6, s9, v1
	v_mul_f32_e32 v1, s8, v1
	v_fma_f32 v6, v0, s8, -v6
	v_fmac_f32_e32 v1, s9, v0
	s_waitcnt vmcnt(0)
	v_add_f32_e32 v0, v6, v4
	v_add_f32_e32 v1, v1, v5
	global_store_dwordx2 v[2:3], v[0:1], off
.LBB34_2:
	s_endpgm
	.section	.rodata,"a",@progbits
	.p2align	6, 0x0
	.amdhsa_kernel _ZL19rocblas_axpy_kernelIiLi256E19rocblas_complex_numIfEPKS1_S3_PS1_EviT2_lT3_lT_lT4_lS7_li
		.amdhsa_group_segment_fixed_size 0
		.amdhsa_private_segment_fixed_size 0
		.amdhsa_kernarg_size 92
		.amdhsa_user_sgpr_count 6
		.amdhsa_user_sgpr_private_segment_buffer 1
		.amdhsa_user_sgpr_dispatch_ptr 0
		.amdhsa_user_sgpr_queue_ptr 0
		.amdhsa_user_sgpr_kernarg_segment_ptr 1
		.amdhsa_user_sgpr_dispatch_id 0
		.amdhsa_user_sgpr_flat_scratch_init 0
		.amdhsa_user_sgpr_private_segment_size 0
		.amdhsa_uses_dynamic_stack 0
		.amdhsa_system_sgpr_private_segment_wavefront_offset 0
		.amdhsa_system_sgpr_workgroup_id_x 1
		.amdhsa_system_sgpr_workgroup_id_y 0
		.amdhsa_system_sgpr_workgroup_id_z 1
		.amdhsa_system_sgpr_workgroup_info 0
		.amdhsa_system_vgpr_workitem_id 0
		.amdhsa_next_free_vgpr 7
		.amdhsa_next_free_sgpr 19
		.amdhsa_reserve_vcc 1
		.amdhsa_reserve_flat_scratch 0
		.amdhsa_float_round_mode_32 0
		.amdhsa_float_round_mode_16_64 0
		.amdhsa_float_denorm_mode_32 3
		.amdhsa_float_denorm_mode_16_64 3
		.amdhsa_dx10_clamp 1
		.amdhsa_ieee_mode 1
		.amdhsa_fp16_overflow 0
		.amdhsa_exception_fp_ieee_invalid_op 0
		.amdhsa_exception_fp_denorm_src 0
		.amdhsa_exception_fp_ieee_div_zero 0
		.amdhsa_exception_fp_ieee_overflow 0
		.amdhsa_exception_fp_ieee_underflow 0
		.amdhsa_exception_fp_ieee_inexact 0
		.amdhsa_exception_int_div_zero 0
	.end_amdhsa_kernel
	.section	.text._ZL19rocblas_axpy_kernelIiLi256E19rocblas_complex_numIfEPKS1_S3_PS1_EviT2_lT3_lT_lT4_lS7_li,"axG",@progbits,_ZL19rocblas_axpy_kernelIiLi256E19rocblas_complex_numIfEPKS1_S3_PS1_EviT2_lT3_lT_lT4_lS7_li,comdat
.Lfunc_end34:
	.size	_ZL19rocblas_axpy_kernelIiLi256E19rocblas_complex_numIfEPKS1_S3_PS1_EviT2_lT3_lT_lT4_lS7_li, .Lfunc_end34-_ZL19rocblas_axpy_kernelIiLi256E19rocblas_complex_numIfEPKS1_S3_PS1_EviT2_lT3_lT_lT4_lS7_li
                                        ; -- End function
	.set _ZL19rocblas_axpy_kernelIiLi256E19rocblas_complex_numIfEPKS1_S3_PS1_EviT2_lT3_lT_lT4_lS7_li.num_vgpr, 7
	.set _ZL19rocblas_axpy_kernelIiLi256E19rocblas_complex_numIfEPKS1_S3_PS1_EviT2_lT3_lT_lT4_lS7_li.num_agpr, 0
	.set _ZL19rocblas_axpy_kernelIiLi256E19rocblas_complex_numIfEPKS1_S3_PS1_EviT2_lT3_lT_lT4_lS7_li.numbered_sgpr, 19
	.set _ZL19rocblas_axpy_kernelIiLi256E19rocblas_complex_numIfEPKS1_S3_PS1_EviT2_lT3_lT_lT4_lS7_li.num_named_barrier, 0
	.set _ZL19rocblas_axpy_kernelIiLi256E19rocblas_complex_numIfEPKS1_S3_PS1_EviT2_lT3_lT_lT4_lS7_li.private_seg_size, 0
	.set _ZL19rocblas_axpy_kernelIiLi256E19rocblas_complex_numIfEPKS1_S3_PS1_EviT2_lT3_lT_lT4_lS7_li.uses_vcc, 1
	.set _ZL19rocblas_axpy_kernelIiLi256E19rocblas_complex_numIfEPKS1_S3_PS1_EviT2_lT3_lT_lT4_lS7_li.uses_flat_scratch, 0
	.set _ZL19rocblas_axpy_kernelIiLi256E19rocblas_complex_numIfEPKS1_S3_PS1_EviT2_lT3_lT_lT4_lS7_li.has_dyn_sized_stack, 0
	.set _ZL19rocblas_axpy_kernelIiLi256E19rocblas_complex_numIfEPKS1_S3_PS1_EviT2_lT3_lT_lT4_lS7_li.has_recursion, 0
	.set _ZL19rocblas_axpy_kernelIiLi256E19rocblas_complex_numIfEPKS1_S3_PS1_EviT2_lT3_lT_lT4_lS7_li.has_indirect_call, 0
	.section	.AMDGPU.csdata,"",@progbits
; Kernel info:
; codeLenInByte = 392
; TotalNumSgprs: 23
; NumVgprs: 7
; ScratchSize: 0
; MemoryBound: 0
; FloatMode: 240
; IeeeMode: 1
; LDSByteSize: 0 bytes/workgroup (compile time only)
; SGPRBlocks: 2
; VGPRBlocks: 1
; NumSGPRsForWavesPerEU: 23
; NumVGPRsForWavesPerEU: 7
; Occupancy: 10
; WaveLimiterHint : 0
; COMPUTE_PGM_RSRC2:SCRATCH_EN: 0
; COMPUTE_PGM_RSRC2:USER_SGPR: 6
; COMPUTE_PGM_RSRC2:TRAP_HANDLER: 0
; COMPUTE_PGM_RSRC2:TGID_X_EN: 1
; COMPUTE_PGM_RSRC2:TGID_Y_EN: 0
; COMPUTE_PGM_RSRC2:TGID_Z_EN: 1
; COMPUTE_PGM_RSRC2:TIDIG_COMP_CNT: 0
	.section	.text._ZL19rocblas_axpy_kernelIiLi256E19rocblas_complex_numIfES1_PKS1_PS1_EviT2_lT3_lT_lT4_lS7_li,"axG",@progbits,_ZL19rocblas_axpy_kernelIiLi256E19rocblas_complex_numIfES1_PKS1_PS1_EviT2_lT3_lT_lT4_lS7_li,comdat
	.globl	_ZL19rocblas_axpy_kernelIiLi256E19rocblas_complex_numIfES1_PKS1_PS1_EviT2_lT3_lT_lT4_lS7_li ; -- Begin function _ZL19rocblas_axpy_kernelIiLi256E19rocblas_complex_numIfES1_PKS1_PS1_EviT2_lT3_lT_lT4_lS7_li
	.p2align	8
	.type	_ZL19rocblas_axpy_kernelIiLi256E19rocblas_complex_numIfES1_PKS1_PS1_EviT2_lT3_lT_lT4_lS7_li,@function
_ZL19rocblas_axpy_kernelIiLi256E19rocblas_complex_numIfES1_PKS1_PS1_EviT2_lT3_lT_lT4_lS7_li: ; @_ZL19rocblas_axpy_kernelIiLi256E19rocblas_complex_numIfES1_PKS1_PS1_EviT2_lT3_lT_lT4_lS7_li
; %bb.0:
	s_load_dwordx4 s[0:3], s[4:5], 0x0
	v_lshl_or_b32 v0, s6, 8, v0
	v_mov_b32_e32 v1, 0
	s_waitcnt lgkmcnt(0)
	s_or_b32 s3, s1, s2
	s_bitset0_b32 s3, 31
	s_cmp_lg_u32 s3, 0
	s_cselect_b64 s[8:9], -1, 0
	s_ashr_i32 s11, s0, 31
	s_mov_b32 s10, s0
	v_cmp_gt_i64_e32 vcc, s[10:11], v[0:1]
	s_and_b64 s[8:9], vcc, s[8:9]
	s_and_saveexec_b64 s[10:11], s[8:9]
	s_cbranch_execz .LBB35_2
; %bb.1:
	s_load_dword s0, s[4:5], 0x28
	s_load_dwordx4 s[12:15], s[4:5], 0x18
	s_waitcnt lgkmcnt(0)
	v_mad_u64_u32 v[1:2], s[8:9], s0, v0, 0
	s_load_dwordx4 s[8:11], s[4:5], 0x30
	s_load_dwordx2 s[16:17], s[4:5], 0x40
	s_load_dword s3, s[4:5], 0x48
	s_ashr_i32 s0, s0, 31
	v_mad_u64_u32 v[2:3], s[18:19], s0, v0, v[2:3]
	s_waitcnt lgkmcnt(0)
	s_mul_i32 s6, s9, s7
	s_mul_hi_u32 s9, s8, s7
	s_add_i32 s9, s9, s6
	s_mul_i32 s8, s8, s7
	s_ashr_i32 s0, s3, 31
	s_lshl_b64 s[8:9], s[8:9], 3
	s_load_dwordx2 s[4:5], s[4:5], 0x50
	s_add_u32 s6, s12, s8
	s_addc_u32 s18, s13, s9
	v_mad_u64_u32 v[3:4], s[12:13], s3, v0, 0
	s_lshl_b64 s[8:9], s[14:15], 3
	s_add_u32 s6, s6, s8
	s_addc_u32 s3, s18, s9
	v_mov_b32_e32 v6, s3
	v_mad_u64_u32 v[4:5], s[8:9], s0, v0, v[4:5]
	s_waitcnt lgkmcnt(0)
	s_mul_i32 s0, s5, s7
	s_mul_hi_u32 s3, s4, s7
	s_add_i32 s5, s3, s0
	s_mul_i32 s4, s4, s7
	v_lshlrev_b64 v[1:2], 3, v[1:2]
	s_lshl_b64 s[4:5], s[4:5], 3
	s_add_u32 s0, s10, s4
	v_add_co_u32_e32 v0, vcc, s6, v1
	s_addc_u32 s3, s11, s5
	s_lshl_b64 s[4:5], s[16:17], 3
	v_addc_co_u32_e32 v1, vcc, v6, v2, vcc
	s_add_u32 s0, s0, s4
	v_lshlrev_b64 v[2:3], 3, v[3:4]
	s_addc_u32 s3, s3, s5
	v_mov_b32_e32 v4, s3
	global_load_dwordx2 v[0:1], v[0:1], off
	v_add_co_u32_e32 v2, vcc, s0, v2
	v_addc_co_u32_e32 v3, vcc, v4, v3, vcc
	global_load_dwordx2 v[4:5], v[2:3], off
	s_waitcnt vmcnt(1)
	v_mul_f32_e32 v6, s2, v1
	v_mul_f32_e32 v1, s1, v1
	v_fma_f32 v6, v0, s1, -v6
	v_fmac_f32_e32 v1, s2, v0
	s_waitcnt vmcnt(0)
	v_add_f32_e32 v0, v6, v4
	v_add_f32_e32 v1, v1, v5
	global_store_dwordx2 v[2:3], v[0:1], off
.LBB35_2:
	s_endpgm
	.section	.rodata,"a",@progbits
	.p2align	6, 0x0
	.amdhsa_kernel _ZL19rocblas_axpy_kernelIiLi256E19rocblas_complex_numIfES1_PKS1_PS1_EviT2_lT3_lT_lT4_lS7_li
		.amdhsa_group_segment_fixed_size 0
		.amdhsa_private_segment_fixed_size 0
		.amdhsa_kernarg_size 92
		.amdhsa_user_sgpr_count 6
		.amdhsa_user_sgpr_private_segment_buffer 1
		.amdhsa_user_sgpr_dispatch_ptr 0
		.amdhsa_user_sgpr_queue_ptr 0
		.amdhsa_user_sgpr_kernarg_segment_ptr 1
		.amdhsa_user_sgpr_dispatch_id 0
		.amdhsa_user_sgpr_flat_scratch_init 0
		.amdhsa_user_sgpr_private_segment_size 0
		.amdhsa_uses_dynamic_stack 0
		.amdhsa_system_sgpr_private_segment_wavefront_offset 0
		.amdhsa_system_sgpr_workgroup_id_x 1
		.amdhsa_system_sgpr_workgroup_id_y 0
		.amdhsa_system_sgpr_workgroup_id_z 1
		.amdhsa_system_sgpr_workgroup_info 0
		.amdhsa_system_vgpr_workitem_id 0
		.amdhsa_next_free_vgpr 7
		.amdhsa_next_free_sgpr 20
		.amdhsa_reserve_vcc 1
		.amdhsa_reserve_flat_scratch 0
		.amdhsa_float_round_mode_32 0
		.amdhsa_float_round_mode_16_64 0
		.amdhsa_float_denorm_mode_32 3
		.amdhsa_float_denorm_mode_16_64 3
		.amdhsa_dx10_clamp 1
		.amdhsa_ieee_mode 1
		.amdhsa_fp16_overflow 0
		.amdhsa_exception_fp_ieee_invalid_op 0
		.amdhsa_exception_fp_denorm_src 0
		.amdhsa_exception_fp_ieee_div_zero 0
		.amdhsa_exception_fp_ieee_overflow 0
		.amdhsa_exception_fp_ieee_underflow 0
		.amdhsa_exception_fp_ieee_inexact 0
		.amdhsa_exception_int_div_zero 0
	.end_amdhsa_kernel
	.section	.text._ZL19rocblas_axpy_kernelIiLi256E19rocblas_complex_numIfES1_PKS1_PS1_EviT2_lT3_lT_lT4_lS7_li,"axG",@progbits,_ZL19rocblas_axpy_kernelIiLi256E19rocblas_complex_numIfES1_PKS1_PS1_EviT2_lT3_lT_lT4_lS7_li,comdat
.Lfunc_end35:
	.size	_ZL19rocblas_axpy_kernelIiLi256E19rocblas_complex_numIfES1_PKS1_PS1_EviT2_lT3_lT_lT4_lS7_li, .Lfunc_end35-_ZL19rocblas_axpy_kernelIiLi256E19rocblas_complex_numIfES1_PKS1_PS1_EviT2_lT3_lT_lT4_lS7_li
                                        ; -- End function
	.set _ZL19rocblas_axpy_kernelIiLi256E19rocblas_complex_numIfES1_PKS1_PS1_EviT2_lT3_lT_lT4_lS7_li.num_vgpr, 7
	.set _ZL19rocblas_axpy_kernelIiLi256E19rocblas_complex_numIfES1_PKS1_PS1_EviT2_lT3_lT_lT4_lS7_li.num_agpr, 0
	.set _ZL19rocblas_axpy_kernelIiLi256E19rocblas_complex_numIfES1_PKS1_PS1_EviT2_lT3_lT_lT4_lS7_li.numbered_sgpr, 20
	.set _ZL19rocblas_axpy_kernelIiLi256E19rocblas_complex_numIfES1_PKS1_PS1_EviT2_lT3_lT_lT4_lS7_li.num_named_barrier, 0
	.set _ZL19rocblas_axpy_kernelIiLi256E19rocblas_complex_numIfES1_PKS1_PS1_EviT2_lT3_lT_lT4_lS7_li.private_seg_size, 0
	.set _ZL19rocblas_axpy_kernelIiLi256E19rocblas_complex_numIfES1_PKS1_PS1_EviT2_lT3_lT_lT4_lS7_li.uses_vcc, 1
	.set _ZL19rocblas_axpy_kernelIiLi256E19rocblas_complex_numIfES1_PKS1_PS1_EviT2_lT3_lT_lT4_lS7_li.uses_flat_scratch, 0
	.set _ZL19rocblas_axpy_kernelIiLi256E19rocblas_complex_numIfES1_PKS1_PS1_EviT2_lT3_lT_lT4_lS7_li.has_dyn_sized_stack, 0
	.set _ZL19rocblas_axpy_kernelIiLi256E19rocblas_complex_numIfES1_PKS1_PS1_EviT2_lT3_lT_lT4_lS7_li.has_recursion, 0
	.set _ZL19rocblas_axpy_kernelIiLi256E19rocblas_complex_numIfES1_PKS1_PS1_EviT2_lT3_lT_lT4_lS7_li.has_indirect_call, 0
	.section	.AMDGPU.csdata,"",@progbits
; Kernel info:
; codeLenInByte = 348
; TotalNumSgprs: 24
; NumVgprs: 7
; ScratchSize: 0
; MemoryBound: 0
; FloatMode: 240
; IeeeMode: 1
; LDSByteSize: 0 bytes/workgroup (compile time only)
; SGPRBlocks: 2
; VGPRBlocks: 1
; NumSGPRsForWavesPerEU: 24
; NumVGPRsForWavesPerEU: 7
; Occupancy: 10
; WaveLimiterHint : 0
; COMPUTE_PGM_RSRC2:SCRATCH_EN: 0
; COMPUTE_PGM_RSRC2:USER_SGPR: 6
; COMPUTE_PGM_RSRC2:TRAP_HANDLER: 0
; COMPUTE_PGM_RSRC2:TGID_X_EN: 1
; COMPUTE_PGM_RSRC2:TGID_Y_EN: 0
; COMPUTE_PGM_RSRC2:TGID_Z_EN: 1
; COMPUTE_PGM_RSRC2:TIDIG_COMP_CNT: 0
	.section	.text._ZL26rocblas_haxpy_mlt_8_kernelILi256EPKDF16_PK19rocblas_complex_numIdEPS3_EviT0_lT1_llT2_lli,"axG",@progbits,_ZL26rocblas_haxpy_mlt_8_kernelILi256EPKDF16_PK19rocblas_complex_numIdEPS3_EviT0_lT1_llT2_lli,comdat
	.globl	_ZL26rocblas_haxpy_mlt_8_kernelILi256EPKDF16_PK19rocblas_complex_numIdEPS3_EviT0_lT1_llT2_lli ; -- Begin function _ZL26rocblas_haxpy_mlt_8_kernelILi256EPKDF16_PK19rocblas_complex_numIdEPS3_EviT0_lT1_llT2_lli
	.p2align	8
	.type	_ZL26rocblas_haxpy_mlt_8_kernelILi256EPKDF16_PK19rocblas_complex_numIdEPS3_EviT0_lT1_llT2_lli,@function
_ZL26rocblas_haxpy_mlt_8_kernelILi256EPKDF16_PK19rocblas_complex_numIdEPS3_EviT0_lT1_llT2_lli: ; @_ZL26rocblas_haxpy_mlt_8_kernelILi256EPKDF16_PK19rocblas_complex_numIdEPS3_EviT0_lT1_llT2_lli
; %bb.0:
	s_load_dwordx16 s[8:23], s[4:5], 0x8
	v_mov_b32_e32 v1, 0
	s_waitcnt lgkmcnt(0)
	s_mul_i32 s0, s11, s7
	s_mul_hi_u32 s1, s10, s7
	s_add_i32 s1, s1, s0
	s_mul_i32 s0, s10, s7
	s_lshl_b64 s[0:1], s[0:1], 1
	s_add_u32 s0, s8, s0
	s_addc_u32 s1, s9, s1
	global_load_ushort v2, v1, s[0:1]
	s_waitcnt vmcnt(0)
	v_and_b32_e32 v3, 0xffff, v2
	v_lshl_or_b32 v3, v2, 16, v3
	v_and_b32_e32 v3, 0x7fff, v3
	v_cmp_eq_u32_e32 vcc, 0, v3
	s_cbranch_vccnz .LBB36_3
; %bb.1:
	s_load_dword s0, s[4:5], 0x0
	v_lshl_or_b32 v0, s6, 8, v0
	v_lshlrev_b64 v[0:1], 3, v[0:1]
	s_waitcnt lgkmcnt(0)
	s_ashr_i32 s1, s0, 31
	v_cmp_gt_i64_e32 vcc, s[0:1], v[0:1]
	s_and_saveexec_b64 s[0:1], vcc
	s_cbranch_execz .LBB36_3
; %bb.2:
	s_mul_i32 s0, s17, s7
	s_mul_hi_u32 s1, s16, s7
	s_add_i32 s1, s1, s0
	s_mul_i32 s0, s16, s7
	s_lshl_b64 s[0:1], s[0:1], 4
	s_add_u32 s2, s12, s0
	s_addc_u32 s3, s13, s1
	s_lshl_b64 s[0:1], s[14:15], 4
	s_add_u32 s0, s2, s0
	v_lshlrev_b64 v[0:1], 4, v[0:1]
	s_addc_u32 s1, s3, s1
	v_mov_b32_e32 v3, s1
	v_add_co_u32_e32 v11, vcc, s0, v0
	s_mul_i32 s0, s23, s7
	s_mul_hi_u32 s1, s22, s7
	s_add_i32 s1, s1, s0
	s_mul_i32 s0, s22, s7
	s_lshl_b64 s[0:1], s[0:1], 4
	s_add_u32 s2, s18, s0
	s_addc_u32 s3, s19, s1
	s_lshl_b64 s[0:1], s[20:21], 4
	s_add_u32 s0, s2, s0
	v_addc_co_u32_e32 v12, vcc, v3, v1, vcc
	s_addc_u32 s1, s3, s1
	v_mov_b32_e32 v3, s1
	v_add_co_u32_e32 v0, vcc, s0, v0
	v_addc_co_u32_e32 v1, vcc, v3, v1, vcc
	global_load_dwordx4 v[3:6], v[11:12], off
	global_load_dwordx4 v[7:10], v[0:1], off
	s_waitcnt vmcnt(0)
	v_pk_fma_f16 v6, v2, v6, v10 op_sel_hi:[0,1,1]
	v_pk_fma_f16 v5, v2, v5, v9 op_sel_hi:[0,1,1]
	;; [unrolled: 1-line block ×4, first 2 shown]
	global_store_dwordx4 v[0:1], v[3:6], off
.LBB36_3:
	s_endpgm
	.section	.rodata,"a",@progbits
	.p2align	6, 0x0
	.amdhsa_kernel _ZL26rocblas_haxpy_mlt_8_kernelILi256EPKDF16_PK19rocblas_complex_numIdEPS3_EviT0_lT1_llT2_lli
		.amdhsa_group_segment_fixed_size 0
		.amdhsa_private_segment_fixed_size 0
		.amdhsa_kernarg_size 76
		.amdhsa_user_sgpr_count 6
		.amdhsa_user_sgpr_private_segment_buffer 1
		.amdhsa_user_sgpr_dispatch_ptr 0
		.amdhsa_user_sgpr_queue_ptr 0
		.amdhsa_user_sgpr_kernarg_segment_ptr 1
		.amdhsa_user_sgpr_dispatch_id 0
		.amdhsa_user_sgpr_flat_scratch_init 0
		.amdhsa_user_sgpr_private_segment_size 0
		.amdhsa_uses_dynamic_stack 0
		.amdhsa_system_sgpr_private_segment_wavefront_offset 0
		.amdhsa_system_sgpr_workgroup_id_x 1
		.amdhsa_system_sgpr_workgroup_id_y 0
		.amdhsa_system_sgpr_workgroup_id_z 1
		.amdhsa_system_sgpr_workgroup_info 0
		.amdhsa_system_vgpr_workitem_id 0
		.amdhsa_next_free_vgpr 13
		.amdhsa_next_free_sgpr 24
		.amdhsa_reserve_vcc 1
		.amdhsa_reserve_flat_scratch 0
		.amdhsa_float_round_mode_32 0
		.amdhsa_float_round_mode_16_64 0
		.amdhsa_float_denorm_mode_32 3
		.amdhsa_float_denorm_mode_16_64 3
		.amdhsa_dx10_clamp 1
		.amdhsa_ieee_mode 1
		.amdhsa_fp16_overflow 0
		.amdhsa_exception_fp_ieee_invalid_op 0
		.amdhsa_exception_fp_denorm_src 0
		.amdhsa_exception_fp_ieee_div_zero 0
		.amdhsa_exception_fp_ieee_overflow 0
		.amdhsa_exception_fp_ieee_underflow 0
		.amdhsa_exception_fp_ieee_inexact 0
		.amdhsa_exception_int_div_zero 0
	.end_amdhsa_kernel
	.section	.text._ZL26rocblas_haxpy_mlt_8_kernelILi256EPKDF16_PK19rocblas_complex_numIdEPS3_EviT0_lT1_llT2_lli,"axG",@progbits,_ZL26rocblas_haxpy_mlt_8_kernelILi256EPKDF16_PK19rocblas_complex_numIdEPS3_EviT0_lT1_llT2_lli,comdat
.Lfunc_end36:
	.size	_ZL26rocblas_haxpy_mlt_8_kernelILi256EPKDF16_PK19rocblas_complex_numIdEPS3_EviT0_lT1_llT2_lli, .Lfunc_end36-_ZL26rocblas_haxpy_mlt_8_kernelILi256EPKDF16_PK19rocblas_complex_numIdEPS3_EviT0_lT1_llT2_lli
                                        ; -- End function
	.set _ZL26rocblas_haxpy_mlt_8_kernelILi256EPKDF16_PK19rocblas_complex_numIdEPS3_EviT0_lT1_llT2_lli.num_vgpr, 13
	.set _ZL26rocblas_haxpy_mlt_8_kernelILi256EPKDF16_PK19rocblas_complex_numIdEPS3_EviT0_lT1_llT2_lli.num_agpr, 0
	.set _ZL26rocblas_haxpy_mlt_8_kernelILi256EPKDF16_PK19rocblas_complex_numIdEPS3_EviT0_lT1_llT2_lli.numbered_sgpr, 24
	.set _ZL26rocblas_haxpy_mlt_8_kernelILi256EPKDF16_PK19rocblas_complex_numIdEPS3_EviT0_lT1_llT2_lli.num_named_barrier, 0
	.set _ZL26rocblas_haxpy_mlt_8_kernelILi256EPKDF16_PK19rocblas_complex_numIdEPS3_EviT0_lT1_llT2_lli.private_seg_size, 0
	.set _ZL26rocblas_haxpy_mlt_8_kernelILi256EPKDF16_PK19rocblas_complex_numIdEPS3_EviT0_lT1_llT2_lli.uses_vcc, 1
	.set _ZL26rocblas_haxpy_mlt_8_kernelILi256EPKDF16_PK19rocblas_complex_numIdEPS3_EviT0_lT1_llT2_lli.uses_flat_scratch, 0
	.set _ZL26rocblas_haxpy_mlt_8_kernelILi256EPKDF16_PK19rocblas_complex_numIdEPS3_EviT0_lT1_llT2_lli.has_dyn_sized_stack, 0
	.set _ZL26rocblas_haxpy_mlt_8_kernelILi256EPKDF16_PK19rocblas_complex_numIdEPS3_EviT0_lT1_llT2_lli.has_recursion, 0
	.set _ZL26rocblas_haxpy_mlt_8_kernelILi256EPKDF16_PK19rocblas_complex_numIdEPS3_EviT0_lT1_llT2_lli.has_indirect_call, 0
	.section	.AMDGPU.csdata,"",@progbits
; Kernel info:
; codeLenInByte = 308
; TotalNumSgprs: 28
; NumVgprs: 13
; ScratchSize: 0
; MemoryBound: 0
; FloatMode: 240
; IeeeMode: 1
; LDSByteSize: 0 bytes/workgroup (compile time only)
; SGPRBlocks: 3
; VGPRBlocks: 3
; NumSGPRsForWavesPerEU: 28
; NumVGPRsForWavesPerEU: 13
; Occupancy: 10
; WaveLimiterHint : 0
; COMPUTE_PGM_RSRC2:SCRATCH_EN: 0
; COMPUTE_PGM_RSRC2:USER_SGPR: 6
; COMPUTE_PGM_RSRC2:TRAP_HANDLER: 0
; COMPUTE_PGM_RSRC2:TGID_X_EN: 1
; COMPUTE_PGM_RSRC2:TGID_Y_EN: 0
; COMPUTE_PGM_RSRC2:TGID_Z_EN: 1
; COMPUTE_PGM_RSRC2:TIDIG_COMP_CNT: 0
	.section	.text._ZL26rocblas_haxpy_mod_8_kernelILi256EPK19rocblas_complex_numIdES3_PS1_EviT0_lT1_llT2_lli,"axG",@progbits,_ZL26rocblas_haxpy_mod_8_kernelILi256EPK19rocblas_complex_numIdES3_PS1_EviT0_lT1_llT2_lli,comdat
	.globl	_ZL26rocblas_haxpy_mod_8_kernelILi256EPK19rocblas_complex_numIdES3_PS1_EviT0_lT1_llT2_lli ; -- Begin function _ZL26rocblas_haxpy_mod_8_kernelILi256EPK19rocblas_complex_numIdES3_PS1_EviT0_lT1_llT2_lli
	.p2align	8
	.type	_ZL26rocblas_haxpy_mod_8_kernelILi256EPK19rocblas_complex_numIdES3_PS1_EviT0_lT1_llT2_lli,@function
_ZL26rocblas_haxpy_mod_8_kernelILi256EPK19rocblas_complex_numIdES3_PS1_EviT0_lT1_llT2_lli: ; @_ZL26rocblas_haxpy_mod_8_kernelILi256EPK19rocblas_complex_numIdES3_PS1_EviT0_lT1_llT2_lli
; %bb.0:
	s_load_dword s24, s[4:5], 0x0
	s_load_dwordx16 s[8:23], s[4:5], 0x8
	v_lshl_or_b32 v0, s6, 8, v0
	v_mov_b32_e32 v1, 0
	s_waitcnt lgkmcnt(0)
	s_ashr_i32 s25, s24, 31
	s_mul_i32 s0, s11, s7
	s_mul_hi_u32 s1, s10, s7
	s_add_i32 s1, s1, s0
	s_mul_i32 s0, s10, s7
	s_lshl_b64 s[0:1], s[0:1], 4
	s_add_u32 s4, s8, s0
	s_addc_u32 s5, s9, s1
	s_load_dwordx4 s[0:3], s[4:5], 0x0
	v_cmp_gt_i64_e32 vcc, s[24:25], v[0:1]
	s_waitcnt lgkmcnt(0)
	v_cmp_neq_f64_e64 s[4:5], s[0:1], 0
	v_cmp_neq_f64_e64 s[8:9], s[2:3], 0
	s_or_b64 s[4:5], s[4:5], s[8:9]
	s_and_b64 s[4:5], vcc, s[4:5]
	s_and_saveexec_b64 s[8:9], s[4:5]
	s_cbranch_execz .LBB37_2
; %bb.1:
	s_mul_i32 s4, s17, s7
	s_mul_hi_u32 s5, s16, s7
	s_add_i32 s5, s5, s4
	s_mul_i32 s4, s16, s7
	s_lshl_b64 s[4:5], s[4:5], 4
	s_add_u32 s6, s12, s4
	s_addc_u32 s8, s13, s5
	s_lshl_b64 s[4:5], s[14:15], 4
	s_add_u32 s4, s6, s4
	v_lshlrev_b64 v[4:5], 4, v[0:1]
	s_addc_u32 s5, s8, s5
	v_mov_b32_e32 v1, s5
	v_add_co_u32_e32 v0, vcc, s4, v4
	v_addc_co_u32_e32 v1, vcc, v1, v5, vcc
	global_load_dwordx4 v[0:3], v[0:1], off
	s_mul_i32 s4, s23, s7
	s_mul_hi_u32 s5, s22, s7
	s_add_i32 s5, s5, s4
	s_mul_i32 s4, s22, s7
	s_lshl_b64 s[4:5], s[4:5], 4
	s_add_u32 s6, s18, s4
	s_addc_u32 s7, s19, s5
	s_lshl_b64 s[4:5], s[20:21], 4
	s_add_u32 s4, s6, s4
	s_addc_u32 s5, s7, s5
	v_mov_b32_e32 v6, s5
	v_add_co_u32_e32 v8, vcc, s4, v4
	v_addc_co_u32_e32 v9, vcc, v6, v5, vcc
	global_load_dwordx4 v[4:7], v[8:9], off
	s_waitcnt vmcnt(1)
	v_mul_f64 v[10:11], s[2:3], v[2:3]
	v_mul_f64 v[2:3], s[0:1], v[2:3]
	v_fma_f64 v[10:11], s[0:1], v[0:1], -v[10:11]
	v_fma_f64 v[2:3], s[2:3], v[0:1], v[2:3]
	s_waitcnt vmcnt(0)
	v_add_f64 v[0:1], v[4:5], v[10:11]
	v_add_f64 v[2:3], v[2:3], v[6:7]
	global_store_dwordx4 v[8:9], v[0:3], off
.LBB37_2:
	s_endpgm
	.section	.rodata,"a",@progbits
	.p2align	6, 0x0
	.amdhsa_kernel _ZL26rocblas_haxpy_mod_8_kernelILi256EPK19rocblas_complex_numIdES3_PS1_EviT0_lT1_llT2_lli
		.amdhsa_group_segment_fixed_size 0
		.amdhsa_private_segment_fixed_size 0
		.amdhsa_kernarg_size 76
		.amdhsa_user_sgpr_count 6
		.amdhsa_user_sgpr_private_segment_buffer 1
		.amdhsa_user_sgpr_dispatch_ptr 0
		.amdhsa_user_sgpr_queue_ptr 0
		.amdhsa_user_sgpr_kernarg_segment_ptr 1
		.amdhsa_user_sgpr_dispatch_id 0
		.amdhsa_user_sgpr_flat_scratch_init 0
		.amdhsa_user_sgpr_private_segment_size 0
		.amdhsa_uses_dynamic_stack 0
		.amdhsa_system_sgpr_private_segment_wavefront_offset 0
		.amdhsa_system_sgpr_workgroup_id_x 1
		.amdhsa_system_sgpr_workgroup_id_y 0
		.amdhsa_system_sgpr_workgroup_id_z 1
		.amdhsa_system_sgpr_workgroup_info 0
		.amdhsa_system_vgpr_workitem_id 0
		.amdhsa_next_free_vgpr 12
		.amdhsa_next_free_sgpr 26
		.amdhsa_reserve_vcc 1
		.amdhsa_reserve_flat_scratch 0
		.amdhsa_float_round_mode_32 0
		.amdhsa_float_round_mode_16_64 0
		.amdhsa_float_denorm_mode_32 3
		.amdhsa_float_denorm_mode_16_64 3
		.amdhsa_dx10_clamp 1
		.amdhsa_ieee_mode 1
		.amdhsa_fp16_overflow 0
		.amdhsa_exception_fp_ieee_invalid_op 0
		.amdhsa_exception_fp_denorm_src 0
		.amdhsa_exception_fp_ieee_div_zero 0
		.amdhsa_exception_fp_ieee_overflow 0
		.amdhsa_exception_fp_ieee_underflow 0
		.amdhsa_exception_fp_ieee_inexact 0
		.amdhsa_exception_int_div_zero 0
	.end_amdhsa_kernel
	.section	.text._ZL26rocblas_haxpy_mod_8_kernelILi256EPK19rocblas_complex_numIdES3_PS1_EviT0_lT1_llT2_lli,"axG",@progbits,_ZL26rocblas_haxpy_mod_8_kernelILi256EPK19rocblas_complex_numIdES3_PS1_EviT0_lT1_llT2_lli,comdat
.Lfunc_end37:
	.size	_ZL26rocblas_haxpy_mod_8_kernelILi256EPK19rocblas_complex_numIdES3_PS1_EviT0_lT1_llT2_lli, .Lfunc_end37-_ZL26rocblas_haxpy_mod_8_kernelILi256EPK19rocblas_complex_numIdES3_PS1_EviT0_lT1_llT2_lli
                                        ; -- End function
	.set _ZL26rocblas_haxpy_mod_8_kernelILi256EPK19rocblas_complex_numIdES3_PS1_EviT0_lT1_llT2_lli.num_vgpr, 12
	.set _ZL26rocblas_haxpy_mod_8_kernelILi256EPK19rocblas_complex_numIdES3_PS1_EviT0_lT1_llT2_lli.num_agpr, 0
	.set _ZL26rocblas_haxpy_mod_8_kernelILi256EPK19rocblas_complex_numIdES3_PS1_EviT0_lT1_llT2_lli.numbered_sgpr, 26
	.set _ZL26rocblas_haxpy_mod_8_kernelILi256EPK19rocblas_complex_numIdES3_PS1_EviT0_lT1_llT2_lli.num_named_barrier, 0
	.set _ZL26rocblas_haxpy_mod_8_kernelILi256EPK19rocblas_complex_numIdES3_PS1_EviT0_lT1_llT2_lli.private_seg_size, 0
	.set _ZL26rocblas_haxpy_mod_8_kernelILi256EPK19rocblas_complex_numIdES3_PS1_EviT0_lT1_llT2_lli.uses_vcc, 1
	.set _ZL26rocblas_haxpy_mod_8_kernelILi256EPK19rocblas_complex_numIdES3_PS1_EviT0_lT1_llT2_lli.uses_flat_scratch, 0
	.set _ZL26rocblas_haxpy_mod_8_kernelILi256EPK19rocblas_complex_numIdES3_PS1_EviT0_lT1_llT2_lli.has_dyn_sized_stack, 0
	.set _ZL26rocblas_haxpy_mod_8_kernelILi256EPK19rocblas_complex_numIdES3_PS1_EviT0_lT1_llT2_lli.has_recursion, 0
	.set _ZL26rocblas_haxpy_mod_8_kernelILi256EPK19rocblas_complex_numIdES3_PS1_EviT0_lT1_llT2_lli.has_indirect_call, 0
	.section	.AMDGPU.csdata,"",@progbits
; Kernel info:
; codeLenInByte = 308
; TotalNumSgprs: 30
; NumVgprs: 12
; ScratchSize: 0
; MemoryBound: 0
; FloatMode: 240
; IeeeMode: 1
; LDSByteSize: 0 bytes/workgroup (compile time only)
; SGPRBlocks: 3
; VGPRBlocks: 2
; NumSGPRsForWavesPerEU: 30
; NumVGPRsForWavesPerEU: 12
; Occupancy: 10
; WaveLimiterHint : 0
; COMPUTE_PGM_RSRC2:SCRATCH_EN: 0
; COMPUTE_PGM_RSRC2:USER_SGPR: 6
; COMPUTE_PGM_RSRC2:TRAP_HANDLER: 0
; COMPUTE_PGM_RSRC2:TGID_X_EN: 1
; COMPUTE_PGM_RSRC2:TGID_Y_EN: 0
; COMPUTE_PGM_RSRC2:TGID_Z_EN: 1
; COMPUTE_PGM_RSRC2:TIDIG_COMP_CNT: 0
	.section	.text._ZL26rocblas_haxpy_mlt_8_kernelILi256EDF16_PK19rocblas_complex_numIdEPS1_EviT0_lT1_llT2_lli,"axG",@progbits,_ZL26rocblas_haxpy_mlt_8_kernelILi256EDF16_PK19rocblas_complex_numIdEPS1_EviT0_lT1_llT2_lli,comdat
	.globl	_ZL26rocblas_haxpy_mlt_8_kernelILi256EDF16_PK19rocblas_complex_numIdEPS1_EviT0_lT1_llT2_lli ; -- Begin function _ZL26rocblas_haxpy_mlt_8_kernelILi256EDF16_PK19rocblas_complex_numIdEPS1_EviT0_lT1_llT2_lli
	.p2align	8
	.type	_ZL26rocblas_haxpy_mlt_8_kernelILi256EDF16_PK19rocblas_complex_numIdEPS1_EviT0_lT1_llT2_lli,@function
_ZL26rocblas_haxpy_mlt_8_kernelILi256EDF16_PK19rocblas_complex_numIdEPS1_EviT0_lT1_llT2_lli: ; @_ZL26rocblas_haxpy_mlt_8_kernelILi256EDF16_PK19rocblas_complex_numIdEPS1_EviT0_lT1_llT2_lli
; %bb.0:
	s_load_dwordx2 s[0:1], s[4:5], 0x0
	s_waitcnt lgkmcnt(0)
	s_pack_ll_b32_b16 s2, s1, s1
	s_and_b32 s2, s2, 0x7fff
	s_cmp_eq_u32 s2, 0
	s_cbranch_scc1 .LBB38_3
; %bb.1:
	v_lshl_or_b32 v0, s6, 8, v0
	v_mov_b32_e32 v1, 0
	v_lshlrev_b64 v[0:1], 3, v[0:1]
	s_ashr_i32 s3, s0, 31
	s_mov_b32 s2, s0
	v_cmp_gt_i64_e32 vcc, s[2:3], v[0:1]
	s_and_saveexec_b64 s[2:3], vcc
	s_cbranch_execz .LBB38_3
; %bb.2:
	s_load_dwordx8 s[8:15], s[4:5], 0x10
	s_load_dwordx4 s[16:19], s[4:5], 0x30
	v_lshlrev_b64 v[0:1], 4, v[0:1]
	s_waitcnt lgkmcnt(0)
	s_mul_i32 s0, s13, s7
	s_mul_hi_u32 s3, s12, s7
	s_mul_i32 s2, s12, s7
	s_add_i32 s3, s3, s0
	s_lshl_b64 s[2:3], s[2:3], 4
	s_add_u32 s0, s8, s2
	s_addc_u32 s4, s9, s3
	s_lshl_b64 s[2:3], s[10:11], 4
	s_add_u32 s0, s0, s2
	s_addc_u32 s2, s4, s3
	v_mov_b32_e32 v2, s2
	v_add_co_u32_e32 v8, vcc, s0, v0
	s_mul_i32 s0, s19, s7
	s_mul_hi_u32 s2, s18, s7
	s_add_i32 s3, s2, s0
	s_mul_i32 s2, s18, s7
	s_lshl_b64 s[2:3], s[2:3], 4
	s_add_u32 s0, s14, s2
	s_addc_u32 s4, s15, s3
	s_lshl_b64 s[2:3], s[16:17], 4
	s_add_u32 s0, s0, s2
	v_addc_co_u32_e32 v9, vcc, v2, v1, vcc
	s_addc_u32 s2, s4, s3
	v_mov_b32_e32 v2, s2
	v_add_co_u32_e32 v10, vcc, s0, v0
	v_addc_co_u32_e32 v11, vcc, v2, v1, vcc
	global_load_dwordx4 v[0:3], v[8:9], off
	global_load_dwordx4 v[4:7], v[10:11], off
	s_waitcnt vmcnt(0)
	v_pk_fma_f16 v3, s1, v3, v7 op_sel_hi:[0,1,1]
	v_pk_fma_f16 v2, s1, v2, v6 op_sel_hi:[0,1,1]
	;; [unrolled: 1-line block ×4, first 2 shown]
	global_store_dwordx4 v[10:11], v[0:3], off
.LBB38_3:
	s_endpgm
	.section	.rodata,"a",@progbits
	.p2align	6, 0x0
	.amdhsa_kernel _ZL26rocblas_haxpy_mlt_8_kernelILi256EDF16_PK19rocblas_complex_numIdEPS1_EviT0_lT1_llT2_lli
		.amdhsa_group_segment_fixed_size 0
		.amdhsa_private_segment_fixed_size 0
		.amdhsa_kernarg_size 68
		.amdhsa_user_sgpr_count 6
		.amdhsa_user_sgpr_private_segment_buffer 1
		.amdhsa_user_sgpr_dispatch_ptr 0
		.amdhsa_user_sgpr_queue_ptr 0
		.amdhsa_user_sgpr_kernarg_segment_ptr 1
		.amdhsa_user_sgpr_dispatch_id 0
		.amdhsa_user_sgpr_flat_scratch_init 0
		.amdhsa_user_sgpr_private_segment_size 0
		.amdhsa_uses_dynamic_stack 0
		.amdhsa_system_sgpr_private_segment_wavefront_offset 0
		.amdhsa_system_sgpr_workgroup_id_x 1
		.amdhsa_system_sgpr_workgroup_id_y 0
		.amdhsa_system_sgpr_workgroup_id_z 1
		.amdhsa_system_sgpr_workgroup_info 0
		.amdhsa_system_vgpr_workitem_id 0
		.amdhsa_next_free_vgpr 12
		.amdhsa_next_free_sgpr 20
		.amdhsa_reserve_vcc 1
		.amdhsa_reserve_flat_scratch 0
		.amdhsa_float_round_mode_32 0
		.amdhsa_float_round_mode_16_64 0
		.amdhsa_float_denorm_mode_32 3
		.amdhsa_float_denorm_mode_16_64 3
		.amdhsa_dx10_clamp 1
		.amdhsa_ieee_mode 1
		.amdhsa_fp16_overflow 0
		.amdhsa_exception_fp_ieee_invalid_op 0
		.amdhsa_exception_fp_denorm_src 0
		.amdhsa_exception_fp_ieee_div_zero 0
		.amdhsa_exception_fp_ieee_overflow 0
		.amdhsa_exception_fp_ieee_underflow 0
		.amdhsa_exception_fp_ieee_inexact 0
		.amdhsa_exception_int_div_zero 0
	.end_amdhsa_kernel
	.section	.text._ZL26rocblas_haxpy_mlt_8_kernelILi256EDF16_PK19rocblas_complex_numIdEPS1_EviT0_lT1_llT2_lli,"axG",@progbits,_ZL26rocblas_haxpy_mlt_8_kernelILi256EDF16_PK19rocblas_complex_numIdEPS1_EviT0_lT1_llT2_lli,comdat
.Lfunc_end38:
	.size	_ZL26rocblas_haxpy_mlt_8_kernelILi256EDF16_PK19rocblas_complex_numIdEPS1_EviT0_lT1_llT2_lli, .Lfunc_end38-_ZL26rocblas_haxpy_mlt_8_kernelILi256EDF16_PK19rocblas_complex_numIdEPS1_EviT0_lT1_llT2_lli
                                        ; -- End function
	.set _ZL26rocblas_haxpy_mlt_8_kernelILi256EDF16_PK19rocblas_complex_numIdEPS1_EviT0_lT1_llT2_lli.num_vgpr, 12
	.set _ZL26rocblas_haxpy_mlt_8_kernelILi256EDF16_PK19rocblas_complex_numIdEPS1_EviT0_lT1_llT2_lli.num_agpr, 0
	.set _ZL26rocblas_haxpy_mlt_8_kernelILi256EDF16_PK19rocblas_complex_numIdEPS1_EviT0_lT1_llT2_lli.numbered_sgpr, 20
	.set _ZL26rocblas_haxpy_mlt_8_kernelILi256EDF16_PK19rocblas_complex_numIdEPS1_EviT0_lT1_llT2_lli.num_named_barrier, 0
	.set _ZL26rocblas_haxpy_mlt_8_kernelILi256EDF16_PK19rocblas_complex_numIdEPS1_EviT0_lT1_llT2_lli.private_seg_size, 0
	.set _ZL26rocblas_haxpy_mlt_8_kernelILi256EDF16_PK19rocblas_complex_numIdEPS1_EviT0_lT1_llT2_lli.uses_vcc, 1
	.set _ZL26rocblas_haxpy_mlt_8_kernelILi256EDF16_PK19rocblas_complex_numIdEPS1_EviT0_lT1_llT2_lli.uses_flat_scratch, 0
	.set _ZL26rocblas_haxpy_mlt_8_kernelILi256EDF16_PK19rocblas_complex_numIdEPS1_EviT0_lT1_llT2_lli.has_dyn_sized_stack, 0
	.set _ZL26rocblas_haxpy_mlt_8_kernelILi256EDF16_PK19rocblas_complex_numIdEPS1_EviT0_lT1_llT2_lli.has_recursion, 0
	.set _ZL26rocblas_haxpy_mlt_8_kernelILi256EDF16_PK19rocblas_complex_numIdEPS1_EviT0_lT1_llT2_lli.has_indirect_call, 0
	.section	.AMDGPU.csdata,"",@progbits
; Kernel info:
; codeLenInByte = 268
; TotalNumSgprs: 24
; NumVgprs: 12
; ScratchSize: 0
; MemoryBound: 0
; FloatMode: 240
; IeeeMode: 1
; LDSByteSize: 0 bytes/workgroup (compile time only)
; SGPRBlocks: 2
; VGPRBlocks: 2
; NumSGPRsForWavesPerEU: 24
; NumVGPRsForWavesPerEU: 12
; Occupancy: 10
; WaveLimiterHint : 0
; COMPUTE_PGM_RSRC2:SCRATCH_EN: 0
; COMPUTE_PGM_RSRC2:USER_SGPR: 6
; COMPUTE_PGM_RSRC2:TRAP_HANDLER: 0
; COMPUTE_PGM_RSRC2:TGID_X_EN: 1
; COMPUTE_PGM_RSRC2:TGID_Y_EN: 0
; COMPUTE_PGM_RSRC2:TGID_Z_EN: 1
; COMPUTE_PGM_RSRC2:TIDIG_COMP_CNT: 0
	.section	.text._ZL26rocblas_haxpy_mod_8_kernelILi256E19rocblas_complex_numIdEPKS1_PS1_EviT0_lT1_llT2_lli,"axG",@progbits,_ZL26rocblas_haxpy_mod_8_kernelILi256E19rocblas_complex_numIdEPKS1_PS1_EviT0_lT1_llT2_lli,comdat
	.globl	_ZL26rocblas_haxpy_mod_8_kernelILi256E19rocblas_complex_numIdEPKS1_PS1_EviT0_lT1_llT2_lli ; -- Begin function _ZL26rocblas_haxpy_mod_8_kernelILi256E19rocblas_complex_numIdEPKS1_PS1_EviT0_lT1_llT2_lli
	.p2align	8
	.type	_ZL26rocblas_haxpy_mod_8_kernelILi256E19rocblas_complex_numIdEPKS1_PS1_EviT0_lT1_llT2_lli,@function
_ZL26rocblas_haxpy_mod_8_kernelILi256E19rocblas_complex_numIdEPKS1_PS1_EviT0_lT1_llT2_lli: ; @_ZL26rocblas_haxpy_mod_8_kernelILi256E19rocblas_complex_numIdEPKS1_PS1_EviT0_lT1_llT2_lli
; %bb.0:
	s_load_dwordx4 s[0:3], s[4:5], 0x8
	s_load_dword s8, s[4:5], 0x0
	v_lshl_or_b32 v0, s6, 8, v0
	v_mov_b32_e32 v1, 0
	s_waitcnt lgkmcnt(0)
	v_cmp_neq_f64_e64 s[10:11], s[0:1], 0
	v_cmp_neq_f64_e64 s[12:13], s[2:3], 0
	s_ashr_i32 s9, s8, 31
	v_cmp_gt_i64_e32 vcc, s[8:9], v[0:1]
	s_or_b64 s[8:9], s[10:11], s[12:13]
	s_and_b64 s[8:9], vcc, s[8:9]
	s_and_saveexec_b64 s[10:11], s[8:9]
	s_cbranch_execz .LBB39_2
; %bb.1:
	s_load_dwordx8 s[8:15], s[4:5], 0x20
	s_load_dwordx4 s[16:19], s[4:5], 0x40
	v_lshlrev_b64 v[4:5], 4, v[0:1]
	s_waitcnt lgkmcnt(0)
	s_mul_i32 s5, s13, s7
	s_mul_hi_u32 s6, s12, s7
	s_mul_i32 s4, s12, s7
	s_add_i32 s5, s6, s5
	s_lshl_b64 s[4:5], s[4:5], 4
	s_add_u32 s6, s8, s4
	s_addc_u32 s8, s9, s5
	s_lshl_b64 s[4:5], s[10:11], 4
	s_add_u32 s4, s6, s4
	s_addc_u32 s5, s8, s5
	v_mov_b32_e32 v1, s5
	v_add_co_u32_e32 v0, vcc, s4, v4
	v_addc_co_u32_e32 v1, vcc, v1, v5, vcc
	global_load_dwordx4 v[0:3], v[0:1], off
	s_mul_i32 s4, s19, s7
	s_mul_hi_u32 s5, s18, s7
	s_add_i32 s5, s5, s4
	s_mul_i32 s4, s18, s7
	s_lshl_b64 s[4:5], s[4:5], 4
	s_add_u32 s6, s14, s4
	s_addc_u32 s7, s15, s5
	s_lshl_b64 s[4:5], s[16:17], 4
	s_add_u32 s4, s6, s4
	s_addc_u32 s5, s7, s5
	v_mov_b32_e32 v6, s5
	v_add_co_u32_e32 v8, vcc, s4, v4
	v_addc_co_u32_e32 v9, vcc, v6, v5, vcc
	global_load_dwordx4 v[4:7], v[8:9], off
	s_waitcnt vmcnt(1)
	v_mul_f64 v[10:11], s[2:3], v[2:3]
	v_mul_f64 v[2:3], s[0:1], v[2:3]
	v_fma_f64 v[10:11], s[0:1], v[0:1], -v[10:11]
	v_fma_f64 v[2:3], s[2:3], v[0:1], v[2:3]
	s_waitcnt vmcnt(0)
	v_add_f64 v[0:1], v[4:5], v[10:11]
	v_add_f64 v[2:3], v[2:3], v[6:7]
	global_store_dwordx4 v[8:9], v[0:3], off
.LBB39_2:
	s_endpgm
	.section	.rodata,"a",@progbits
	.p2align	6, 0x0
	.amdhsa_kernel _ZL26rocblas_haxpy_mod_8_kernelILi256E19rocblas_complex_numIdEPKS1_PS1_EviT0_lT1_llT2_lli
		.amdhsa_group_segment_fixed_size 0
		.amdhsa_private_segment_fixed_size 0
		.amdhsa_kernarg_size 84
		.amdhsa_user_sgpr_count 6
		.amdhsa_user_sgpr_private_segment_buffer 1
		.amdhsa_user_sgpr_dispatch_ptr 0
		.amdhsa_user_sgpr_queue_ptr 0
		.amdhsa_user_sgpr_kernarg_segment_ptr 1
		.amdhsa_user_sgpr_dispatch_id 0
		.amdhsa_user_sgpr_flat_scratch_init 0
		.amdhsa_user_sgpr_private_segment_size 0
		.amdhsa_uses_dynamic_stack 0
		.amdhsa_system_sgpr_private_segment_wavefront_offset 0
		.amdhsa_system_sgpr_workgroup_id_x 1
		.amdhsa_system_sgpr_workgroup_id_y 0
		.amdhsa_system_sgpr_workgroup_id_z 1
		.amdhsa_system_sgpr_workgroup_info 0
		.amdhsa_system_vgpr_workitem_id 0
		.amdhsa_next_free_vgpr 12
		.amdhsa_next_free_sgpr 20
		.amdhsa_reserve_vcc 1
		.amdhsa_reserve_flat_scratch 0
		.amdhsa_float_round_mode_32 0
		.amdhsa_float_round_mode_16_64 0
		.amdhsa_float_denorm_mode_32 3
		.amdhsa_float_denorm_mode_16_64 3
		.amdhsa_dx10_clamp 1
		.amdhsa_ieee_mode 1
		.amdhsa_fp16_overflow 0
		.amdhsa_exception_fp_ieee_invalid_op 0
		.amdhsa_exception_fp_denorm_src 0
		.amdhsa_exception_fp_ieee_div_zero 0
		.amdhsa_exception_fp_ieee_overflow 0
		.amdhsa_exception_fp_ieee_underflow 0
		.amdhsa_exception_fp_ieee_inexact 0
		.amdhsa_exception_int_div_zero 0
	.end_amdhsa_kernel
	.section	.text._ZL26rocblas_haxpy_mod_8_kernelILi256E19rocblas_complex_numIdEPKS1_PS1_EviT0_lT1_llT2_lli,"axG",@progbits,_ZL26rocblas_haxpy_mod_8_kernelILi256E19rocblas_complex_numIdEPKS1_PS1_EviT0_lT1_llT2_lli,comdat
.Lfunc_end39:
	.size	_ZL26rocblas_haxpy_mod_8_kernelILi256E19rocblas_complex_numIdEPKS1_PS1_EviT0_lT1_llT2_lli, .Lfunc_end39-_ZL26rocblas_haxpy_mod_8_kernelILi256E19rocblas_complex_numIdEPKS1_PS1_EviT0_lT1_llT2_lli
                                        ; -- End function
	.set _ZL26rocblas_haxpy_mod_8_kernelILi256E19rocblas_complex_numIdEPKS1_PS1_EviT0_lT1_llT2_lli.num_vgpr, 12
	.set _ZL26rocblas_haxpy_mod_8_kernelILi256E19rocblas_complex_numIdEPKS1_PS1_EviT0_lT1_llT2_lli.num_agpr, 0
	.set _ZL26rocblas_haxpy_mod_8_kernelILi256E19rocblas_complex_numIdEPKS1_PS1_EviT0_lT1_llT2_lli.numbered_sgpr, 20
	.set _ZL26rocblas_haxpy_mod_8_kernelILi256E19rocblas_complex_numIdEPKS1_PS1_EviT0_lT1_llT2_lli.num_named_barrier, 0
	.set _ZL26rocblas_haxpy_mod_8_kernelILi256E19rocblas_complex_numIdEPKS1_PS1_EviT0_lT1_llT2_lli.private_seg_size, 0
	.set _ZL26rocblas_haxpy_mod_8_kernelILi256E19rocblas_complex_numIdEPKS1_PS1_EviT0_lT1_llT2_lli.uses_vcc, 1
	.set _ZL26rocblas_haxpy_mod_8_kernelILi256E19rocblas_complex_numIdEPKS1_PS1_EviT0_lT1_llT2_lli.uses_flat_scratch, 0
	.set _ZL26rocblas_haxpy_mod_8_kernelILi256E19rocblas_complex_numIdEPKS1_PS1_EviT0_lT1_llT2_lli.has_dyn_sized_stack, 0
	.set _ZL26rocblas_haxpy_mod_8_kernelILi256E19rocblas_complex_numIdEPKS1_PS1_EviT0_lT1_llT2_lli.has_recursion, 0
	.set _ZL26rocblas_haxpy_mod_8_kernelILi256E19rocblas_complex_numIdEPKS1_PS1_EviT0_lT1_llT2_lli.has_indirect_call, 0
	.section	.AMDGPU.csdata,"",@progbits
; Kernel info:
; codeLenInByte = 288
; TotalNumSgprs: 24
; NumVgprs: 12
; ScratchSize: 0
; MemoryBound: 0
; FloatMode: 240
; IeeeMode: 1
; LDSByteSize: 0 bytes/workgroup (compile time only)
; SGPRBlocks: 2
; VGPRBlocks: 2
; NumSGPRsForWavesPerEU: 24
; NumVGPRsForWavesPerEU: 12
; Occupancy: 10
; WaveLimiterHint : 0
; COMPUTE_PGM_RSRC2:SCRATCH_EN: 0
; COMPUTE_PGM_RSRC2:USER_SGPR: 6
; COMPUTE_PGM_RSRC2:TRAP_HANDLER: 0
; COMPUTE_PGM_RSRC2:TGID_X_EN: 1
; COMPUTE_PGM_RSRC2:TGID_Y_EN: 0
; COMPUTE_PGM_RSRC2:TGID_Z_EN: 1
; COMPUTE_PGM_RSRC2:TIDIG_COMP_CNT: 0
	.section	.text._ZL22rocblas_saxpy_2_kernelILi256E19rocblas_complex_numIdEPKS1_S3_PS1_EviT1_lT2_llT3_lli,"axG",@progbits,_ZL22rocblas_saxpy_2_kernelILi256E19rocblas_complex_numIdEPKS1_S3_PS1_EviT1_lT2_llT3_lli,comdat
	.globl	_ZL22rocblas_saxpy_2_kernelILi256E19rocblas_complex_numIdEPKS1_S3_PS1_EviT1_lT2_llT3_lli ; -- Begin function _ZL22rocblas_saxpy_2_kernelILi256E19rocblas_complex_numIdEPKS1_S3_PS1_EviT1_lT2_llT3_lli
	.p2align	8
	.type	_ZL22rocblas_saxpy_2_kernelILi256E19rocblas_complex_numIdEPKS1_S3_PS1_EviT1_lT2_llT3_lli,@function
_ZL22rocblas_saxpy_2_kernelILi256E19rocblas_complex_numIdEPKS1_S3_PS1_EviT1_lT2_llT3_lli: ; @_ZL22rocblas_saxpy_2_kernelILi256E19rocblas_complex_numIdEPKS1_S3_PS1_EviT1_lT2_llT3_lli
; %bb.0:
	s_load_dwordx4 s[0:3], s[4:5], 0x8
	s_waitcnt lgkmcnt(0)
	s_mul_i32 s3, s3, s7
	s_mul_hi_u32 s8, s2, s7
	s_add_i32 s3, s8, s3
	s_mul_i32 s2, s2, s7
	s_lshl_b64 s[2:3], s[2:3], 4
	s_add_u32 s8, s0, s2
	s_addc_u32 s9, s1, s3
	s_load_dwordx4 s[0:3], s[8:9], 0x0
	s_waitcnt lgkmcnt(0)
	v_cmp_neq_f64_e64 s[8:9], s[0:1], 0
	v_cmp_neq_f64_e64 s[10:11], s[2:3], 0
	s_or_b64 s[8:9], s[8:9], s[10:11]
	s_andn2_b64 vcc, exec, s[8:9]
	s_cbranch_vccnz .LBB40_5
; %bb.1:
	s_load_dwordx2 s[10:11], s[4:5], 0x18
	s_load_dword s8, s[4:5], 0x0
	s_load_dwordx2 s[20:21], s[4:5], 0x30
	s_load_dwordx4 s[12:15], s[4:5], 0x20
	s_load_dwordx4 s[16:19], s[4:5], 0x38
	v_lshlrev_b32_e32 v0, 1, v0
	v_lshl_or_b32 v0, s6, 9, v0
	v_mov_b32_e32 v1, 0
	s_waitcnt lgkmcnt(0)
	s_mul_i32 s4, s15, s7
	s_mul_hi_u32 s5, s14, s7
	s_add_i32 s5, s5, s4
	s_mul_i32 s4, s14, s7
	s_lshl_b64 s[4:5], s[4:5], 4
	s_add_u32 s6, s10, s4
	s_addc_u32 s10, s11, s5
	s_lshl_b64 s[4:5], s[12:13], 4
	s_add_u32 s9, s6, s4
	s_addc_u32 s10, s10, s5
	s_mul_i32 s4, s19, s7
	s_mul_hi_u32 s5, s18, s7
	s_add_i32 s5, s5, s4
	s_mul_i32 s4, s18, s7
	s_lshl_b64 s[4:5], s[4:5], 4
	s_add_u32 s6, s20, s4
	s_addc_u32 s7, s21, s5
	s_lshl_b64 s[4:5], s[16:17], 4
	s_add_u32 s11, s6, s4
	s_addc_u32 s12, s7, s5
	s_add_i32 s4, s8, -1
	s_ashr_i32 s5, s4, 31
	v_cmp_gt_i64_e32 vcc, s[4:5], v[0:1]
	v_lshlrev_b64 v[2:3], 4, v[0:1]
	s_and_saveexec_b64 s[6:7], vcc
	s_cbranch_execz .LBB40_3
; %bb.2:
	v_mov_b32_e32 v4, s10
	v_add_co_u32_e32 v12, vcc, s9, v2
	v_addc_co_u32_e32 v13, vcc, v4, v3, vcc
	global_load_dwordx4 v[4:7], v[12:13], off
	v_mov_b32_e32 v8, s12
	v_add_co_u32_e32 v16, vcc, s11, v2
	v_addc_co_u32_e32 v17, vcc, v8, v3, vcc
	global_load_dwordx4 v[8:11], v[16:17], off
	s_waitcnt vmcnt(1)
	v_mul_f64 v[18:19], s[2:3], v[6:7]
	v_mul_f64 v[6:7], s[0:1], v[6:7]
	global_load_dwordx4 v[12:15], v[12:13], off offset:16
	v_fma_f64 v[18:19], s[0:1], v[4:5], -v[18:19]
	v_fma_f64 v[6:7], s[2:3], v[4:5], v[6:7]
	s_waitcnt vmcnt(1)
	v_add_f64 v[4:5], v[8:9], v[18:19]
	v_add_f64 v[6:7], v[6:7], v[10:11]
	global_load_dwordx4 v[8:11], v[16:17], off offset:16
	s_waitcnt vmcnt(1)
	v_mul_f64 v[18:19], s[2:3], v[14:15]
	v_mul_f64 v[14:15], s[0:1], v[14:15]
	v_fma_f64 v[18:19], s[0:1], v[12:13], -v[18:19]
	v_fma_f64 v[12:13], s[2:3], v[12:13], v[14:15]
	s_waitcnt vmcnt(0)
	v_add_f64 v[8:9], v[8:9], v[18:19]
	v_add_f64 v[10:11], v[12:13], v[10:11]
	global_store_dwordx4 v[16:17], v[4:7], off
	global_store_dwordx4 v[16:17], v[8:11], off offset:16
.LBB40_3:
	s_or_b64 exec, exec, s[6:7]
	s_bitcmp1_b32 s8, 0
	v_cmp_eq_u64_e32 vcc, s[4:5], v[0:1]
	s_cselect_b64 s[4:5], -1, 0
	s_and_b64 s[4:5], s[4:5], vcc
	s_and_saveexec_b64 s[6:7], s[4:5]
	s_cbranch_execz .LBB40_5
; %bb.4:
	v_mov_b32_e32 v1, s10
	v_add_co_u32_e32 v0, vcc, s9, v2
	v_addc_co_u32_e32 v1, vcc, v1, v3, vcc
	global_load_dwordx4 v[4:7], v[0:1], off
	v_mov_b32_e32 v0, s12
	v_add_co_u32_e32 v8, vcc, s11, v2
	v_addc_co_u32_e32 v9, vcc, v0, v3, vcc
	global_load_dwordx4 v[0:3], v[8:9], off
	s_waitcnt vmcnt(1)
	v_mul_f64 v[10:11], s[2:3], v[6:7]
	v_mul_f64 v[6:7], s[0:1], v[6:7]
	v_fma_f64 v[10:11], s[0:1], v[4:5], -v[10:11]
	v_fma_f64 v[4:5], s[2:3], v[4:5], v[6:7]
	s_waitcnt vmcnt(0)
	v_add_f64 v[0:1], v[0:1], v[10:11]
	v_add_f64 v[2:3], v[4:5], v[2:3]
	global_store_dwordx4 v[8:9], v[0:3], off
.LBB40_5:
	s_endpgm
	.section	.rodata,"a",@progbits
	.p2align	6, 0x0
	.amdhsa_kernel _ZL22rocblas_saxpy_2_kernelILi256E19rocblas_complex_numIdEPKS1_S3_PS1_EviT1_lT2_llT3_lli
		.amdhsa_group_segment_fixed_size 0
		.amdhsa_private_segment_fixed_size 0
		.amdhsa_kernarg_size 76
		.amdhsa_user_sgpr_count 6
		.amdhsa_user_sgpr_private_segment_buffer 1
		.amdhsa_user_sgpr_dispatch_ptr 0
		.amdhsa_user_sgpr_queue_ptr 0
		.amdhsa_user_sgpr_kernarg_segment_ptr 1
		.amdhsa_user_sgpr_dispatch_id 0
		.amdhsa_user_sgpr_flat_scratch_init 0
		.amdhsa_user_sgpr_private_segment_size 0
		.amdhsa_uses_dynamic_stack 0
		.amdhsa_system_sgpr_private_segment_wavefront_offset 0
		.amdhsa_system_sgpr_workgroup_id_x 1
		.amdhsa_system_sgpr_workgroup_id_y 0
		.amdhsa_system_sgpr_workgroup_id_z 1
		.amdhsa_system_sgpr_workgroup_info 0
		.amdhsa_system_vgpr_workitem_id 0
		.amdhsa_next_free_vgpr 20
		.amdhsa_next_free_sgpr 22
		.amdhsa_reserve_vcc 1
		.amdhsa_reserve_flat_scratch 0
		.amdhsa_float_round_mode_32 0
		.amdhsa_float_round_mode_16_64 0
		.amdhsa_float_denorm_mode_32 3
		.amdhsa_float_denorm_mode_16_64 3
		.amdhsa_dx10_clamp 1
		.amdhsa_ieee_mode 1
		.amdhsa_fp16_overflow 0
		.amdhsa_exception_fp_ieee_invalid_op 0
		.amdhsa_exception_fp_denorm_src 0
		.amdhsa_exception_fp_ieee_div_zero 0
		.amdhsa_exception_fp_ieee_overflow 0
		.amdhsa_exception_fp_ieee_underflow 0
		.amdhsa_exception_fp_ieee_inexact 0
		.amdhsa_exception_int_div_zero 0
	.end_amdhsa_kernel
	.section	.text._ZL22rocblas_saxpy_2_kernelILi256E19rocblas_complex_numIdEPKS1_S3_PS1_EviT1_lT2_llT3_lli,"axG",@progbits,_ZL22rocblas_saxpy_2_kernelILi256E19rocblas_complex_numIdEPKS1_S3_PS1_EviT1_lT2_llT3_lli,comdat
.Lfunc_end40:
	.size	_ZL22rocblas_saxpy_2_kernelILi256E19rocblas_complex_numIdEPKS1_S3_PS1_EviT1_lT2_llT3_lli, .Lfunc_end40-_ZL22rocblas_saxpy_2_kernelILi256E19rocblas_complex_numIdEPKS1_S3_PS1_EviT1_lT2_llT3_lli
                                        ; -- End function
	.set _ZL22rocblas_saxpy_2_kernelILi256E19rocblas_complex_numIdEPKS1_S3_PS1_EviT1_lT2_llT3_lli.num_vgpr, 20
	.set _ZL22rocblas_saxpy_2_kernelILi256E19rocblas_complex_numIdEPKS1_S3_PS1_EviT1_lT2_llT3_lli.num_agpr, 0
	.set _ZL22rocblas_saxpy_2_kernelILi256E19rocblas_complex_numIdEPKS1_S3_PS1_EviT1_lT2_llT3_lli.numbered_sgpr, 22
	.set _ZL22rocblas_saxpy_2_kernelILi256E19rocblas_complex_numIdEPKS1_S3_PS1_EviT1_lT2_llT3_lli.num_named_barrier, 0
	.set _ZL22rocblas_saxpy_2_kernelILi256E19rocblas_complex_numIdEPKS1_S3_PS1_EviT1_lT2_llT3_lli.private_seg_size, 0
	.set _ZL22rocblas_saxpy_2_kernelILi256E19rocblas_complex_numIdEPKS1_S3_PS1_EviT1_lT2_llT3_lli.uses_vcc, 1
	.set _ZL22rocblas_saxpy_2_kernelILi256E19rocblas_complex_numIdEPKS1_S3_PS1_EviT1_lT2_llT3_lli.uses_flat_scratch, 0
	.set _ZL22rocblas_saxpy_2_kernelILi256E19rocblas_complex_numIdEPKS1_S3_PS1_EviT1_lT2_llT3_lli.has_dyn_sized_stack, 0
	.set _ZL22rocblas_saxpy_2_kernelILi256E19rocblas_complex_numIdEPKS1_S3_PS1_EviT1_lT2_llT3_lli.has_recursion, 0
	.set _ZL22rocblas_saxpy_2_kernelILi256E19rocblas_complex_numIdEPKS1_S3_PS1_EviT1_lT2_llT3_lli.has_indirect_call, 0
	.section	.AMDGPU.csdata,"",@progbits
; Kernel info:
; codeLenInByte = 568
; TotalNumSgprs: 26
; NumVgprs: 20
; ScratchSize: 0
; MemoryBound: 0
; FloatMode: 240
; IeeeMode: 1
; LDSByteSize: 0 bytes/workgroup (compile time only)
; SGPRBlocks: 3
; VGPRBlocks: 4
; NumSGPRsForWavesPerEU: 26
; NumVGPRsForWavesPerEU: 20
; Occupancy: 10
; WaveLimiterHint : 0
; COMPUTE_PGM_RSRC2:SCRATCH_EN: 0
; COMPUTE_PGM_RSRC2:USER_SGPR: 6
; COMPUTE_PGM_RSRC2:TRAP_HANDLER: 0
; COMPUTE_PGM_RSRC2:TGID_X_EN: 1
; COMPUTE_PGM_RSRC2:TGID_Y_EN: 0
; COMPUTE_PGM_RSRC2:TGID_Z_EN: 1
; COMPUTE_PGM_RSRC2:TIDIG_COMP_CNT: 0
	.section	.text._ZL22rocblas_saxpy_2_kernelILi256E19rocblas_complex_numIdES1_PKS1_PS1_EviT1_lT2_llT3_lli,"axG",@progbits,_ZL22rocblas_saxpy_2_kernelILi256E19rocblas_complex_numIdES1_PKS1_PS1_EviT1_lT2_llT3_lli,comdat
	.globl	_ZL22rocblas_saxpy_2_kernelILi256E19rocblas_complex_numIdES1_PKS1_PS1_EviT1_lT2_llT3_lli ; -- Begin function _ZL22rocblas_saxpy_2_kernelILi256E19rocblas_complex_numIdES1_PKS1_PS1_EviT1_lT2_llT3_lli
	.p2align	8
	.type	_ZL22rocblas_saxpy_2_kernelILi256E19rocblas_complex_numIdES1_PKS1_PS1_EviT1_lT2_llT3_lli,@function
_ZL22rocblas_saxpy_2_kernelILi256E19rocblas_complex_numIdES1_PKS1_PS1_EviT1_lT2_llT3_lli: ; @_ZL22rocblas_saxpy_2_kernelILi256E19rocblas_complex_numIdES1_PKS1_PS1_EviT1_lT2_llT3_lli
; %bb.0:
	s_load_dwordx4 s[0:3], s[4:5], 0x8
	s_waitcnt lgkmcnt(0)
	v_cmp_neq_f64_e64 s[8:9], s[0:1], 0
	v_cmp_neq_f64_e64 s[10:11], s[2:3], 0
	s_or_b64 s[8:9], s[8:9], s[10:11]
	s_andn2_b64 vcc, exec, s[8:9]
	s_cbranch_vccnz .LBB41_5
; %bb.1:
	s_load_dwordx2 s[10:11], s[4:5], 0x20
	s_load_dword s8, s[4:5], 0x0
	s_load_dwordx2 s[20:21], s[4:5], 0x38
	s_load_dwordx4 s[12:15], s[4:5], 0x28
	s_load_dwordx4 s[16:19], s[4:5], 0x40
	v_lshlrev_b32_e32 v0, 1, v0
	v_lshl_or_b32 v0, s6, 9, v0
	v_mov_b32_e32 v1, 0
	s_waitcnt lgkmcnt(0)
	s_mul_i32 s4, s15, s7
	s_mul_hi_u32 s5, s14, s7
	s_add_i32 s5, s5, s4
	s_mul_i32 s4, s14, s7
	s_lshl_b64 s[4:5], s[4:5], 4
	s_add_u32 s6, s10, s4
	s_addc_u32 s10, s11, s5
	s_lshl_b64 s[4:5], s[12:13], 4
	s_add_u32 s9, s6, s4
	s_addc_u32 s10, s10, s5
	s_mul_i32 s4, s19, s7
	s_mul_hi_u32 s5, s18, s7
	s_add_i32 s5, s5, s4
	s_mul_i32 s4, s18, s7
	s_lshl_b64 s[4:5], s[4:5], 4
	s_add_u32 s6, s20, s4
	s_addc_u32 s7, s21, s5
	s_lshl_b64 s[4:5], s[16:17], 4
	s_add_u32 s11, s6, s4
	s_addc_u32 s12, s7, s5
	s_add_i32 s4, s8, -1
	s_ashr_i32 s5, s4, 31
	v_cmp_gt_i64_e32 vcc, s[4:5], v[0:1]
	v_lshlrev_b64 v[2:3], 4, v[0:1]
	s_and_saveexec_b64 s[6:7], vcc
	s_cbranch_execz .LBB41_3
; %bb.2:
	v_mov_b32_e32 v4, s10
	v_add_co_u32_e32 v12, vcc, s9, v2
	v_addc_co_u32_e32 v13, vcc, v4, v3, vcc
	global_load_dwordx4 v[4:7], v[12:13], off
	v_mov_b32_e32 v8, s12
	v_add_co_u32_e32 v16, vcc, s11, v2
	v_addc_co_u32_e32 v17, vcc, v8, v3, vcc
	global_load_dwordx4 v[8:11], v[16:17], off
	s_waitcnt vmcnt(1)
	v_mul_f64 v[18:19], s[2:3], v[6:7]
	v_mul_f64 v[6:7], s[0:1], v[6:7]
	global_load_dwordx4 v[12:15], v[12:13], off offset:16
	v_fma_f64 v[18:19], s[0:1], v[4:5], -v[18:19]
	v_fma_f64 v[6:7], s[2:3], v[4:5], v[6:7]
	s_waitcnt vmcnt(1)
	v_add_f64 v[4:5], v[8:9], v[18:19]
	v_add_f64 v[6:7], v[6:7], v[10:11]
	global_load_dwordx4 v[8:11], v[16:17], off offset:16
	s_waitcnt vmcnt(1)
	v_mul_f64 v[18:19], s[2:3], v[14:15]
	v_mul_f64 v[14:15], s[0:1], v[14:15]
	v_fma_f64 v[18:19], s[0:1], v[12:13], -v[18:19]
	v_fma_f64 v[12:13], s[2:3], v[12:13], v[14:15]
	s_waitcnt vmcnt(0)
	v_add_f64 v[8:9], v[8:9], v[18:19]
	v_add_f64 v[10:11], v[12:13], v[10:11]
	global_store_dwordx4 v[16:17], v[4:7], off
	global_store_dwordx4 v[16:17], v[8:11], off offset:16
.LBB41_3:
	s_or_b64 exec, exec, s[6:7]
	s_bitcmp1_b32 s8, 0
	v_cmp_eq_u64_e32 vcc, s[4:5], v[0:1]
	s_cselect_b64 s[4:5], -1, 0
	s_and_b64 s[4:5], s[4:5], vcc
	s_and_saveexec_b64 s[6:7], s[4:5]
	s_cbranch_execz .LBB41_5
; %bb.4:
	v_mov_b32_e32 v1, s10
	v_add_co_u32_e32 v0, vcc, s9, v2
	v_addc_co_u32_e32 v1, vcc, v1, v3, vcc
	global_load_dwordx4 v[4:7], v[0:1], off
	v_mov_b32_e32 v0, s12
	v_add_co_u32_e32 v8, vcc, s11, v2
	v_addc_co_u32_e32 v9, vcc, v0, v3, vcc
	global_load_dwordx4 v[0:3], v[8:9], off
	s_waitcnt vmcnt(1)
	v_mul_f64 v[10:11], s[2:3], v[6:7]
	v_mul_f64 v[6:7], s[0:1], v[6:7]
	v_fma_f64 v[10:11], s[0:1], v[4:5], -v[10:11]
	v_fma_f64 v[4:5], s[2:3], v[4:5], v[6:7]
	s_waitcnt vmcnt(0)
	v_add_f64 v[0:1], v[0:1], v[10:11]
	v_add_f64 v[2:3], v[4:5], v[2:3]
	global_store_dwordx4 v[8:9], v[0:3], off
.LBB41_5:
	s_endpgm
	.section	.rodata,"a",@progbits
	.p2align	6, 0x0
	.amdhsa_kernel _ZL22rocblas_saxpy_2_kernelILi256E19rocblas_complex_numIdES1_PKS1_PS1_EviT1_lT2_llT3_lli
		.amdhsa_group_segment_fixed_size 0
		.amdhsa_private_segment_fixed_size 0
		.amdhsa_kernarg_size 84
		.amdhsa_user_sgpr_count 6
		.amdhsa_user_sgpr_private_segment_buffer 1
		.amdhsa_user_sgpr_dispatch_ptr 0
		.amdhsa_user_sgpr_queue_ptr 0
		.amdhsa_user_sgpr_kernarg_segment_ptr 1
		.amdhsa_user_sgpr_dispatch_id 0
		.amdhsa_user_sgpr_flat_scratch_init 0
		.amdhsa_user_sgpr_private_segment_size 0
		.amdhsa_uses_dynamic_stack 0
		.amdhsa_system_sgpr_private_segment_wavefront_offset 0
		.amdhsa_system_sgpr_workgroup_id_x 1
		.amdhsa_system_sgpr_workgroup_id_y 0
		.amdhsa_system_sgpr_workgroup_id_z 1
		.amdhsa_system_sgpr_workgroup_info 0
		.amdhsa_system_vgpr_workitem_id 0
		.amdhsa_next_free_vgpr 20
		.amdhsa_next_free_sgpr 22
		.amdhsa_reserve_vcc 1
		.amdhsa_reserve_flat_scratch 0
		.amdhsa_float_round_mode_32 0
		.amdhsa_float_round_mode_16_64 0
		.amdhsa_float_denorm_mode_32 3
		.amdhsa_float_denorm_mode_16_64 3
		.amdhsa_dx10_clamp 1
		.amdhsa_ieee_mode 1
		.amdhsa_fp16_overflow 0
		.amdhsa_exception_fp_ieee_invalid_op 0
		.amdhsa_exception_fp_denorm_src 0
		.amdhsa_exception_fp_ieee_div_zero 0
		.amdhsa_exception_fp_ieee_overflow 0
		.amdhsa_exception_fp_ieee_underflow 0
		.amdhsa_exception_fp_ieee_inexact 0
		.amdhsa_exception_int_div_zero 0
	.end_amdhsa_kernel
	.section	.text._ZL22rocblas_saxpy_2_kernelILi256E19rocblas_complex_numIdES1_PKS1_PS1_EviT1_lT2_llT3_lli,"axG",@progbits,_ZL22rocblas_saxpy_2_kernelILi256E19rocblas_complex_numIdES1_PKS1_PS1_EviT1_lT2_llT3_lli,comdat
.Lfunc_end41:
	.size	_ZL22rocblas_saxpy_2_kernelILi256E19rocblas_complex_numIdES1_PKS1_PS1_EviT1_lT2_llT3_lli, .Lfunc_end41-_ZL22rocblas_saxpy_2_kernelILi256E19rocblas_complex_numIdES1_PKS1_PS1_EviT1_lT2_llT3_lli
                                        ; -- End function
	.set _ZL22rocblas_saxpy_2_kernelILi256E19rocblas_complex_numIdES1_PKS1_PS1_EviT1_lT2_llT3_lli.num_vgpr, 20
	.set _ZL22rocblas_saxpy_2_kernelILi256E19rocblas_complex_numIdES1_PKS1_PS1_EviT1_lT2_llT3_lli.num_agpr, 0
	.set _ZL22rocblas_saxpy_2_kernelILi256E19rocblas_complex_numIdES1_PKS1_PS1_EviT1_lT2_llT3_lli.numbered_sgpr, 22
	.set _ZL22rocblas_saxpy_2_kernelILi256E19rocblas_complex_numIdES1_PKS1_PS1_EviT1_lT2_llT3_lli.num_named_barrier, 0
	.set _ZL22rocblas_saxpy_2_kernelILi256E19rocblas_complex_numIdES1_PKS1_PS1_EviT1_lT2_llT3_lli.private_seg_size, 0
	.set _ZL22rocblas_saxpy_2_kernelILi256E19rocblas_complex_numIdES1_PKS1_PS1_EviT1_lT2_llT3_lli.uses_vcc, 1
	.set _ZL22rocblas_saxpy_2_kernelILi256E19rocblas_complex_numIdES1_PKS1_PS1_EviT1_lT2_llT3_lli.uses_flat_scratch, 0
	.set _ZL22rocblas_saxpy_2_kernelILi256E19rocblas_complex_numIdES1_PKS1_PS1_EviT1_lT2_llT3_lli.has_dyn_sized_stack, 0
	.set _ZL22rocblas_saxpy_2_kernelILi256E19rocblas_complex_numIdES1_PKS1_PS1_EviT1_lT2_llT3_lli.has_recursion, 0
	.set _ZL22rocblas_saxpy_2_kernelILi256E19rocblas_complex_numIdES1_PKS1_PS1_EviT1_lT2_llT3_lli.has_indirect_call, 0
	.section	.AMDGPU.csdata,"",@progbits
; Kernel info:
; codeLenInByte = 528
; TotalNumSgprs: 26
; NumVgprs: 20
; ScratchSize: 0
; MemoryBound: 0
; FloatMode: 240
; IeeeMode: 1
; LDSByteSize: 0 bytes/workgroup (compile time only)
; SGPRBlocks: 3
; VGPRBlocks: 4
; NumSGPRsForWavesPerEU: 26
; NumVGPRsForWavesPerEU: 20
; Occupancy: 10
; WaveLimiterHint : 0
; COMPUTE_PGM_RSRC2:SCRATCH_EN: 0
; COMPUTE_PGM_RSRC2:USER_SGPR: 6
; COMPUTE_PGM_RSRC2:TRAP_HANDLER: 0
; COMPUTE_PGM_RSRC2:TGID_X_EN: 1
; COMPUTE_PGM_RSRC2:TGID_Y_EN: 0
; COMPUTE_PGM_RSRC2:TGID_Z_EN: 1
; COMPUTE_PGM_RSRC2:TIDIG_COMP_CNT: 0
	.section	.text._ZL27rocblas_axpy_kernel_batchedIiLi128ELi8E19rocblas_complex_numIdEPKS1_S3_PS1_EviT3_lT4_lT_lT5_lS7_li,"axG",@progbits,_ZL27rocblas_axpy_kernel_batchedIiLi128ELi8E19rocblas_complex_numIdEPKS1_S3_PS1_EviT3_lT4_lT_lT5_lS7_li,comdat
	.globl	_ZL27rocblas_axpy_kernel_batchedIiLi128ELi8E19rocblas_complex_numIdEPKS1_S3_PS1_EviT3_lT4_lT_lT5_lS7_li ; -- Begin function _ZL27rocblas_axpy_kernel_batchedIiLi128ELi8E19rocblas_complex_numIdEPKS1_S3_PS1_EviT3_lT4_lT_lT5_lS7_li
	.p2align	8
	.type	_ZL27rocblas_axpy_kernel_batchedIiLi128ELi8E19rocblas_complex_numIdEPKS1_S3_PS1_EviT3_lT4_lT_lT5_lS7_li,@function
_ZL27rocblas_axpy_kernel_batchedIiLi128ELi8E19rocblas_complex_numIdEPKS1_S3_PS1_EviT3_lT4_lT_lT5_lS7_li: ; @_ZL27rocblas_axpy_kernel_batchedIiLi128ELi8E19rocblas_complex_numIdEPKS1_S3_PS1_EviT3_lT4_lT_lT5_lS7_li
; %bb.0:
	s_load_dword s0, s[4:5], 0x0
	v_lshl_add_u32 v2, s6, 7, v0
	v_mov_b32_e32 v3, 0
	s_waitcnt lgkmcnt(0)
	s_ashr_i32 s1, s0, 31
	v_cmp_gt_i64_e32 vcc, s[0:1], v[2:3]
	s_and_saveexec_b64 s[0:1], vcc
	s_cbranch_execz .LBB42_13
; %bb.1:
	s_load_dword s20, s[4:5], 0x28
	s_load_dwordx8 s[8:15], s[4:5], 0x8
	s_load_dwordx4 s[16:19], s[4:5], 0x30
	s_load_dwordx2 s[0:1], s[4:5], 0x40
	s_load_dword s22, s[4:5], 0x48
	s_load_dwordx2 s[2:3], s[4:5], 0x50
	s_load_dword s6, s[4:5], 0x58
	s_waitcnt lgkmcnt(0)
	v_mad_u64_u32 v[3:4], s[4:5], s20, v2, 0
	v_mad_u64_u32 v[9:10], s[4:5], s22, v2, 0
	s_ashr_i32 s21, s20, 31
	v_mov_b32_e32 v0, v4
	v_mad_u64_u32 v[4:5], s[4:5], s21, v2, v[0:1]
	s_ashr_i32 s20, s22, 31
	v_mov_b32_e32 v0, v10
	v_mad_u64_u32 v[5:6], s[4:5], s20, v2, v[0:1]
	v_lshlrev_b32_e32 v0, 2, v1
	s_lshl_b64 s[4:5], s[14:15], 4
	v_lshl_add_u32 v8, s7, 5, v0
	s_add_u32 s4, s12, s4
	v_lshlrev_b64 v[0:1], 4, v[3:4]
	s_addc_u32 s5, s13, s5
	v_mov_b32_e32 v10, v5
	v_mov_b32_e32 v2, s5
	v_add_co_u32_e32 v6, vcc, s4, v0
	s_lshl_b64 s[0:1], s[0:1], 4
	v_addc_co_u32_e32 v7, vcc, v2, v1, vcc
	s_add_u32 s0, s18, s0
	v_lshlrev_b64 v[0:1], 4, v[9:10]
	s_addc_u32 s1, s19, s1
	v_mov_b32_e32 v2, s1
	v_add_co_u32_e32 v4, vcc, s0, v0
	v_addc_co_u32_e32 v5, vcc, v2, v1, vcc
	v_cmp_gt_u32_e32 vcc, s6, v8
	s_and_saveexec_b64 s[4:5], vcc
	s_cbranch_execz .LBB42_4
; %bb.2:
	v_mad_u64_u32 v[0:1], s[0:1], s10, v8, 0
	v_mad_u64_u32 v[1:2], s[0:1], s11, v8, v[1:2]
	v_mov_b32_e32 v2, s9
	v_lshlrev_b64 v[0:1], 4, v[0:1]
	v_add_co_u32_e32 v0, vcc, s8, v0
	v_addc_co_u32_e32 v1, vcc, v2, v1, vcc
	global_load_dwordx4 v[0:3], v[0:1], off
	s_waitcnt vmcnt(0)
	v_cmp_neq_f64_e32 vcc, 0, v[0:1]
	v_cmp_neq_f64_e64 s[0:1], 0, v[2:3]
	s_or_b64 s[0:1], vcc, s[0:1]
	s_and_b64 exec, exec, s[0:1]
	s_cbranch_execz .LBB42_4
; %bb.3:
	v_mad_u64_u32 v[9:10], s[0:1], s16, v8, 0
	v_mad_u64_u32 v[13:14], s[0:1], s2, v8, 0
	v_mad_u64_u32 v[10:11], s[0:1], s17, v8, v[10:11]
	v_mad_u64_u32 v[14:15], s[0:1], s3, v8, v[14:15]
	v_lshlrev_b64 v[9:10], 4, v[9:10]
	v_lshlrev_b64 v[13:14], 4, v[13:14]
	v_add_co_u32_e32 v9, vcc, v6, v9
	v_addc_co_u32_e32 v10, vcc, v7, v10, vcc
	global_load_dwordx4 v[9:12], v[9:10], off
	v_add_co_u32_e32 v13, vcc, v4, v13
	v_addc_co_u32_e32 v14, vcc, v5, v14, vcc
	s_waitcnt vmcnt(0)
	v_mul_f64 v[15:16], v[2:3], v[11:12]
	v_mul_f64 v[11:12], v[0:1], v[11:12]
	v_fma_f64 v[15:16], v[0:1], v[9:10], -v[15:16]
	v_fma_f64 v[9:10], v[2:3], v[9:10], v[11:12]
	global_load_dwordx4 v[0:3], v[13:14], off
	s_waitcnt vmcnt(0)
	v_add_f64 v[0:1], v[0:1], v[15:16]
	v_add_f64 v[2:3], v[9:10], v[2:3]
	global_store_dwordx4 v[13:14], v[0:3], off
.LBB42_4:
	s_or_b64 exec, exec, s[4:5]
	v_or_b32_e32 v9, 1, v8
	v_cmp_gt_u32_e32 vcc, s6, v9
	s_and_saveexec_b64 s[4:5], vcc
	s_cbranch_execz .LBB42_7
; %bb.5:
	v_mad_u64_u32 v[0:1], s[0:1], s10, v9, 0
	v_mad_u64_u32 v[1:2], s[0:1], s11, v9, v[1:2]
	v_mov_b32_e32 v2, s9
	v_lshlrev_b64 v[0:1], 4, v[0:1]
	v_add_co_u32_e32 v0, vcc, s8, v0
	v_addc_co_u32_e32 v1, vcc, v2, v1, vcc
	global_load_dwordx4 v[0:3], v[0:1], off
	s_waitcnt vmcnt(0)
	v_cmp_neq_f64_e32 vcc, 0, v[0:1]
	v_cmp_neq_f64_e64 s[0:1], 0, v[2:3]
	s_or_b64 s[0:1], vcc, s[0:1]
	s_and_b64 exec, exec, s[0:1]
	s_cbranch_execz .LBB42_7
; %bb.6:
	v_mad_u64_u32 v[10:11], s[0:1], s16, v9, 0
	v_mad_u64_u32 v[14:15], s[0:1], s2, v9, 0
	v_mad_u64_u32 v[11:12], s[0:1], s17, v9, v[11:12]
	v_mad_u64_u32 v[15:16], s[0:1], s3, v9, v[15:16]
	v_lshlrev_b64 v[10:11], 4, v[10:11]
	v_lshlrev_b64 v[14:15], 4, v[14:15]
	v_add_co_u32_e32 v10, vcc, v6, v10
	v_addc_co_u32_e32 v11, vcc, v7, v11, vcc
	global_load_dwordx4 v[10:13], v[10:11], off
	v_add_co_u32_e32 v14, vcc, v4, v14
	v_addc_co_u32_e32 v15, vcc, v5, v15, vcc
	s_waitcnt vmcnt(0)
	v_mul_f64 v[16:17], v[2:3], v[12:13]
	v_mul_f64 v[12:13], v[0:1], v[12:13]
	v_fma_f64 v[16:17], v[0:1], v[10:11], -v[16:17]
	v_fma_f64 v[9:10], v[2:3], v[10:11], v[12:13]
	global_load_dwordx4 v[0:3], v[14:15], off
	s_waitcnt vmcnt(0)
	v_add_f64 v[0:1], v[0:1], v[16:17]
	v_add_f64 v[2:3], v[9:10], v[2:3]
	global_store_dwordx4 v[14:15], v[0:3], off
.LBB42_7:
	s_or_b64 exec, exec, s[4:5]
	v_or_b32_e32 v9, 2, v8
	;; [unrolled: 42-line block ×3, first 2 shown]
	v_cmp_gt_u32_e32 vcc, s6, v8
	s_and_b64 exec, exec, vcc
	s_cbranch_execz .LBB42_13
; %bb.11:
	v_mad_u64_u32 v[0:1], s[0:1], s10, v8, 0
	v_mad_u64_u32 v[1:2], s[0:1], s11, v8, v[1:2]
	v_mov_b32_e32 v2, s9
	v_lshlrev_b64 v[0:1], 4, v[0:1]
	v_add_co_u32_e32 v0, vcc, s8, v0
	v_addc_co_u32_e32 v1, vcc, v2, v1, vcc
	global_load_dwordx4 v[0:3], v[0:1], off
	s_waitcnt vmcnt(0)
	v_cmp_neq_f64_e32 vcc, 0, v[0:1]
	v_cmp_neq_f64_e64 s[0:1], 0, v[2:3]
	s_or_b64 s[0:1], vcc, s[0:1]
	s_and_b64 exec, exec, s[0:1]
	s_cbranch_execz .LBB42_13
; %bb.12:
	v_mad_u64_u32 v[9:10], s[0:1], s16, v8, 0
	v_mad_u64_u32 v[10:11], s[0:1], s17, v8, v[10:11]
	v_lshlrev_b64 v[9:10], 4, v[9:10]
	v_add_co_u32_e32 v6, vcc, v6, v9
	v_addc_co_u32_e32 v7, vcc, v7, v10, vcc
	global_load_dwordx4 v[9:12], v[6:7], off
	v_mad_u64_u32 v[6:7], s[0:1], s2, v8, 0
	v_mad_u64_u32 v[7:8], s[0:1], s3, v8, v[7:8]
	v_lshlrev_b64 v[6:7], 4, v[6:7]
	v_add_co_u32_e32 v13, vcc, v4, v6
	v_addc_co_u32_e32 v14, vcc, v5, v7, vcc
	global_load_dwordx4 v[4:7], v[13:14], off
	s_waitcnt vmcnt(1)
	v_mul_f64 v[15:16], v[2:3], v[11:12]
	v_mul_f64 v[11:12], v[0:1], v[11:12]
	v_fma_f64 v[0:1], v[0:1], v[9:10], -v[15:16]
	v_fma_f64 v[2:3], v[2:3], v[9:10], v[11:12]
	s_waitcnt vmcnt(0)
	v_add_f64 v[0:1], v[4:5], v[0:1]
	v_add_f64 v[2:3], v[2:3], v[6:7]
	global_store_dwordx4 v[13:14], v[0:3], off
.LBB42_13:
	s_endpgm
	.section	.rodata,"a",@progbits
	.p2align	6, 0x0
	.amdhsa_kernel _ZL27rocblas_axpy_kernel_batchedIiLi128ELi8E19rocblas_complex_numIdEPKS1_S3_PS1_EviT3_lT4_lT_lT5_lS7_li
		.amdhsa_group_segment_fixed_size 0
		.amdhsa_private_segment_fixed_size 0
		.amdhsa_kernarg_size 92
		.amdhsa_user_sgpr_count 6
		.amdhsa_user_sgpr_private_segment_buffer 1
		.amdhsa_user_sgpr_dispatch_ptr 0
		.amdhsa_user_sgpr_queue_ptr 0
		.amdhsa_user_sgpr_kernarg_segment_ptr 1
		.amdhsa_user_sgpr_dispatch_id 0
		.amdhsa_user_sgpr_flat_scratch_init 0
		.amdhsa_user_sgpr_private_segment_size 0
		.amdhsa_uses_dynamic_stack 0
		.amdhsa_system_sgpr_private_segment_wavefront_offset 0
		.amdhsa_system_sgpr_workgroup_id_x 1
		.amdhsa_system_sgpr_workgroup_id_y 0
		.amdhsa_system_sgpr_workgroup_id_z 1
		.amdhsa_system_sgpr_workgroup_info 0
		.amdhsa_system_vgpr_workitem_id 1
		.amdhsa_next_free_vgpr 18
		.amdhsa_next_free_sgpr 23
		.amdhsa_reserve_vcc 1
		.amdhsa_reserve_flat_scratch 0
		.amdhsa_float_round_mode_32 0
		.amdhsa_float_round_mode_16_64 0
		.amdhsa_float_denorm_mode_32 3
		.amdhsa_float_denorm_mode_16_64 3
		.amdhsa_dx10_clamp 1
		.amdhsa_ieee_mode 1
		.amdhsa_fp16_overflow 0
		.amdhsa_exception_fp_ieee_invalid_op 0
		.amdhsa_exception_fp_denorm_src 0
		.amdhsa_exception_fp_ieee_div_zero 0
		.amdhsa_exception_fp_ieee_overflow 0
		.amdhsa_exception_fp_ieee_underflow 0
		.amdhsa_exception_fp_ieee_inexact 0
		.amdhsa_exception_int_div_zero 0
	.end_amdhsa_kernel
	.section	.text._ZL27rocblas_axpy_kernel_batchedIiLi128ELi8E19rocblas_complex_numIdEPKS1_S3_PS1_EviT3_lT4_lT_lT5_lS7_li,"axG",@progbits,_ZL27rocblas_axpy_kernel_batchedIiLi128ELi8E19rocblas_complex_numIdEPKS1_S3_PS1_EviT3_lT4_lT_lT5_lS7_li,comdat
.Lfunc_end42:
	.size	_ZL27rocblas_axpy_kernel_batchedIiLi128ELi8E19rocblas_complex_numIdEPKS1_S3_PS1_EviT3_lT4_lT_lT5_lS7_li, .Lfunc_end42-_ZL27rocblas_axpy_kernel_batchedIiLi128ELi8E19rocblas_complex_numIdEPKS1_S3_PS1_EviT3_lT4_lT_lT5_lS7_li
                                        ; -- End function
	.set _ZL27rocblas_axpy_kernel_batchedIiLi128ELi8E19rocblas_complex_numIdEPKS1_S3_PS1_EviT3_lT4_lT_lT5_lS7_li.num_vgpr, 18
	.set _ZL27rocblas_axpy_kernel_batchedIiLi128ELi8E19rocblas_complex_numIdEPKS1_S3_PS1_EviT3_lT4_lT_lT5_lS7_li.num_agpr, 0
	.set _ZL27rocblas_axpy_kernel_batchedIiLi128ELi8E19rocblas_complex_numIdEPKS1_S3_PS1_EviT3_lT4_lT_lT5_lS7_li.numbered_sgpr, 23
	.set _ZL27rocblas_axpy_kernel_batchedIiLi128ELi8E19rocblas_complex_numIdEPKS1_S3_PS1_EviT3_lT4_lT_lT5_lS7_li.num_named_barrier, 0
	.set _ZL27rocblas_axpy_kernel_batchedIiLi128ELi8E19rocblas_complex_numIdEPKS1_S3_PS1_EviT3_lT4_lT_lT5_lS7_li.private_seg_size, 0
	.set _ZL27rocblas_axpy_kernel_batchedIiLi128ELi8E19rocblas_complex_numIdEPKS1_S3_PS1_EviT3_lT4_lT_lT5_lS7_li.uses_vcc, 1
	.set _ZL27rocblas_axpy_kernel_batchedIiLi128ELi8E19rocblas_complex_numIdEPKS1_S3_PS1_EviT3_lT4_lT_lT5_lS7_li.uses_flat_scratch, 0
	.set _ZL27rocblas_axpy_kernel_batchedIiLi128ELi8E19rocblas_complex_numIdEPKS1_S3_PS1_EviT3_lT4_lT_lT5_lS7_li.has_dyn_sized_stack, 0
	.set _ZL27rocblas_axpy_kernel_batchedIiLi128ELi8E19rocblas_complex_numIdEPKS1_S3_PS1_EviT3_lT4_lT_lT5_lS7_li.has_recursion, 0
	.set _ZL27rocblas_axpy_kernel_batchedIiLi128ELi8E19rocblas_complex_numIdEPKS1_S3_PS1_EviT3_lT4_lT_lT5_lS7_li.has_indirect_call, 0
	.section	.AMDGPU.csdata,"",@progbits
; Kernel info:
; codeLenInByte = 1168
; TotalNumSgprs: 27
; NumVgprs: 18
; ScratchSize: 0
; MemoryBound: 0
; FloatMode: 240
; IeeeMode: 1
; LDSByteSize: 0 bytes/workgroup (compile time only)
; SGPRBlocks: 3
; VGPRBlocks: 4
; NumSGPRsForWavesPerEU: 27
; NumVGPRsForWavesPerEU: 18
; Occupancy: 10
; WaveLimiterHint : 0
; COMPUTE_PGM_RSRC2:SCRATCH_EN: 0
; COMPUTE_PGM_RSRC2:USER_SGPR: 6
; COMPUTE_PGM_RSRC2:TRAP_HANDLER: 0
; COMPUTE_PGM_RSRC2:TGID_X_EN: 1
; COMPUTE_PGM_RSRC2:TGID_Y_EN: 0
; COMPUTE_PGM_RSRC2:TGID_Z_EN: 1
; COMPUTE_PGM_RSRC2:TIDIG_COMP_CNT: 1
	.section	.text._ZL27rocblas_axpy_kernel_batchedIiLi128ELi8E19rocblas_complex_numIdES1_PKS1_PS1_EviT3_lT4_lT_lT5_lS7_li,"axG",@progbits,_ZL27rocblas_axpy_kernel_batchedIiLi128ELi8E19rocblas_complex_numIdES1_PKS1_PS1_EviT3_lT4_lT_lT5_lS7_li,comdat
	.globl	_ZL27rocblas_axpy_kernel_batchedIiLi128ELi8E19rocblas_complex_numIdES1_PKS1_PS1_EviT3_lT4_lT_lT5_lS7_li ; -- Begin function _ZL27rocblas_axpy_kernel_batchedIiLi128ELi8E19rocblas_complex_numIdES1_PKS1_PS1_EviT3_lT4_lT_lT5_lS7_li
	.p2align	8
	.type	_ZL27rocblas_axpy_kernel_batchedIiLi128ELi8E19rocblas_complex_numIdES1_PKS1_PS1_EviT3_lT4_lT_lT5_lS7_li,@function
_ZL27rocblas_axpy_kernel_batchedIiLi128ELi8E19rocblas_complex_numIdES1_PKS1_PS1_EviT3_lT4_lT_lT5_lS7_li: ; @_ZL27rocblas_axpy_kernel_batchedIiLi128ELi8E19rocblas_complex_numIdES1_PKS1_PS1_EviT3_lT4_lT_lT5_lS7_li
; %bb.0:
	s_load_dword s0, s[4:5], 0x0
	v_lshl_add_u32 v2, s6, 7, v0
	v_mov_b32_e32 v3, 0
	s_waitcnt lgkmcnt(0)
	s_ashr_i32 s1, s0, 31
	v_cmp_gt_i64_e32 vcc, s[0:1], v[2:3]
	s_and_saveexec_b64 s[0:1], vcc
	s_cbranch_execz .LBB43_9
; %bb.1:
	s_load_dword s6, s[4:5], 0x30
	s_load_dwordx4 s[0:3], s[4:5], 0x8
	s_load_dwordx4 s[16:19], s[4:5], 0x20
	;; [unrolled: 1-line block ×3, first 2 shown]
	s_load_dwordx2 s[20:21], s[4:5], 0x48
	s_load_dword s22, s[4:5], 0x50
	s_load_dwordx2 s[12:13], s[4:5], 0x58
	s_load_dword s14, s[4:5], 0x60
	s_waitcnt lgkmcnt(0)
	v_mad_u64_u32 v[5:6], s[4:5], s6, v2, 0
	v_mad_u64_u32 v[7:8], s[4:5], s22, v2, 0
	s_ashr_i32 s15, s6, 31
	v_mov_b32_e32 v0, v6
	s_ashr_i32 s6, s22, 31
	v_mad_u64_u32 v[3:4], s[4:5], s15, v2, v[0:1]
	v_mov_b32_e32 v0, v8
	v_mad_u64_u32 v[8:9], s[4:5], s6, v2, v[0:1]
	s_lshl_b64 s[4:5], s[18:19], 4
	v_lshlrev_b32_e32 v0, 2, v1
	s_add_u32 s4, s16, s4
	v_lshl_add_u32 v4, s7, 5, v0
	s_addc_u32 s5, s17, s5
	v_cmp_eq_f64_e64 s[6:7], s[0:1], 0
	v_cmp_eq_f64_e64 s[16:17], s[2:3], 0
	v_mov_b32_e32 v6, v3
	v_lshlrev_b64 v[0:1], 4, v[5:6]
	v_mov_b32_e32 v3, s5
	v_add_co_u32_e32 v2, vcc, s4, v0
	s_lshl_b64 s[4:5], s[20:21], 4
	v_addc_co_u32_e32 v3, vcc, v3, v1, vcc
	s_add_u32 s4, s10, s4
	v_lshlrev_b64 v[0:1], 4, v[7:8]
	s_addc_u32 s5, s11, s5
	v_mov_b32_e32 v5, s5
	v_add_co_u32_e32 v0, vcc, s4, v0
	v_addc_co_u32_e32 v1, vcc, v5, v1, vcc
	s_and_b64 s[4:5], s[6:7], s[16:17]
	s_xor_b64 s[4:5], s[4:5], -1
	v_cmp_gt_u32_e32 vcc, s14, v4
	s_and_b64 s[10:11], vcc, s[4:5]
	s_and_saveexec_b64 s[6:7], s[10:11]
	s_cbranch_execz .LBB43_3
; %bb.2:
	v_mad_u64_u32 v[5:6], s[10:11], s8, v4, 0
	v_mad_u64_u32 v[9:10], s[10:11], s12, v4, 0
	v_mad_u64_u32 v[6:7], s[10:11], s9, v4, v[6:7]
	v_mad_u64_u32 v[10:11], s[10:11], s13, v4, v[10:11]
	v_lshlrev_b64 v[5:6], 4, v[5:6]
	v_lshlrev_b64 v[9:10], 4, v[9:10]
	v_add_co_u32_e32 v5, vcc, v2, v5
	v_addc_co_u32_e32 v6, vcc, v3, v6, vcc
	global_load_dwordx4 v[5:8], v[5:6], off
	v_add_co_u32_e32 v13, vcc, v0, v9
	v_addc_co_u32_e32 v14, vcc, v1, v10, vcc
	global_load_dwordx4 v[9:12], v[13:14], off
	s_waitcnt vmcnt(1)
	v_mul_f64 v[15:16], s[2:3], v[7:8]
	v_mul_f64 v[7:8], s[0:1], v[7:8]
	v_fma_f64 v[15:16], s[0:1], v[5:6], -v[15:16]
	v_fma_f64 v[7:8], s[2:3], v[5:6], v[7:8]
	s_waitcnt vmcnt(0)
	v_add_f64 v[5:6], v[9:10], v[15:16]
	v_add_f64 v[7:8], v[7:8], v[11:12]
	global_store_dwordx4 v[13:14], v[5:8], off
.LBB43_3:
	s_or_b64 exec, exec, s[6:7]
	v_or_b32_e32 v5, 1, v4
	v_cmp_gt_u32_e32 vcc, s14, v5
	s_and_b64 s[10:11], vcc, s[4:5]
	s_and_saveexec_b64 s[6:7], s[10:11]
	s_cbranch_execz .LBB43_5
; %bb.4:
	v_mad_u64_u32 v[6:7], s[10:11], s8, v5, 0
	v_mad_u64_u32 v[10:11], s[10:11], s12, v5, 0
	v_mad_u64_u32 v[7:8], s[10:11], s9, v5, v[7:8]
	v_mad_u64_u32 v[11:12], s[10:11], s13, v5, v[11:12]
	v_lshlrev_b64 v[6:7], 4, v[6:7]
	v_lshlrev_b64 v[10:11], 4, v[10:11]
	v_add_co_u32_e32 v6, vcc, v2, v6
	v_addc_co_u32_e32 v7, vcc, v3, v7, vcc
	global_load_dwordx4 v[6:9], v[6:7], off
	v_add_co_u32_e32 v14, vcc, v0, v10
	v_addc_co_u32_e32 v15, vcc, v1, v11, vcc
	global_load_dwordx4 v[10:13], v[14:15], off
	s_waitcnt vmcnt(1)
	v_mul_f64 v[16:17], s[2:3], v[8:9]
	v_mul_f64 v[8:9], s[0:1], v[8:9]
	v_fma_f64 v[16:17], s[0:1], v[6:7], -v[16:17]
	v_fma_f64 v[7:8], s[2:3], v[6:7], v[8:9]
	s_waitcnt vmcnt(0)
	v_add_f64 v[5:6], v[10:11], v[16:17]
	v_add_f64 v[7:8], v[7:8], v[12:13]
	global_store_dwordx4 v[14:15], v[5:8], off
.LBB43_5:
	s_or_b64 exec, exec, s[6:7]
	v_or_b32_e32 v5, 2, v4
	;; [unrolled: 29-line block ×3, first 2 shown]
	v_cmp_gt_u32_e32 vcc, s14, v4
	s_and_b64 s[4:5], vcc, s[4:5]
	s_and_b64 exec, exec, s[4:5]
	s_cbranch_execz .LBB43_9
; %bb.8:
	v_mad_u64_u32 v[5:6], s[4:5], s8, v4, 0
	v_mad_u64_u32 v[6:7], s[4:5], s9, v4, v[6:7]
	v_lshlrev_b64 v[5:6], 4, v[5:6]
	v_add_co_u32_e32 v2, vcc, v2, v5
	v_addc_co_u32_e32 v3, vcc, v3, v6, vcc
	global_load_dwordx4 v[5:8], v[2:3], off
	v_mad_u64_u32 v[2:3], s[4:5], s12, v4, 0
	v_mad_u64_u32 v[3:4], s[4:5], s13, v4, v[3:4]
	v_lshlrev_b64 v[2:3], 4, v[2:3]
	v_add_co_u32_e32 v9, vcc, v0, v2
	v_addc_co_u32_e32 v10, vcc, v1, v3, vcc
	global_load_dwordx4 v[0:3], v[9:10], off
	s_waitcnt vmcnt(1)
	v_mul_f64 v[11:12], s[2:3], v[7:8]
	v_mul_f64 v[7:8], s[0:1], v[7:8]
	v_fma_f64 v[11:12], s[0:1], v[5:6], -v[11:12]
	v_fma_f64 v[4:5], s[2:3], v[5:6], v[7:8]
	s_waitcnt vmcnt(0)
	v_add_f64 v[0:1], v[0:1], v[11:12]
	v_add_f64 v[2:3], v[4:5], v[2:3]
	global_store_dwordx4 v[9:10], v[0:3], off
.LBB43_9:
	s_endpgm
	.section	.rodata,"a",@progbits
	.p2align	6, 0x0
	.amdhsa_kernel _ZL27rocblas_axpy_kernel_batchedIiLi128ELi8E19rocblas_complex_numIdES1_PKS1_PS1_EviT3_lT4_lT_lT5_lS7_li
		.amdhsa_group_segment_fixed_size 0
		.amdhsa_private_segment_fixed_size 0
		.amdhsa_kernarg_size 100
		.amdhsa_user_sgpr_count 6
		.amdhsa_user_sgpr_private_segment_buffer 1
		.amdhsa_user_sgpr_dispatch_ptr 0
		.amdhsa_user_sgpr_queue_ptr 0
		.amdhsa_user_sgpr_kernarg_segment_ptr 1
		.amdhsa_user_sgpr_dispatch_id 0
		.amdhsa_user_sgpr_flat_scratch_init 0
		.amdhsa_user_sgpr_private_segment_size 0
		.amdhsa_uses_dynamic_stack 0
		.amdhsa_system_sgpr_private_segment_wavefront_offset 0
		.amdhsa_system_sgpr_workgroup_id_x 1
		.amdhsa_system_sgpr_workgroup_id_y 0
		.amdhsa_system_sgpr_workgroup_id_z 1
		.amdhsa_system_sgpr_workgroup_info 0
		.amdhsa_system_vgpr_workitem_id 1
		.amdhsa_next_free_vgpr 18
		.amdhsa_next_free_sgpr 23
		.amdhsa_reserve_vcc 1
		.amdhsa_reserve_flat_scratch 0
		.amdhsa_float_round_mode_32 0
		.amdhsa_float_round_mode_16_64 0
		.amdhsa_float_denorm_mode_32 3
		.amdhsa_float_denorm_mode_16_64 3
		.amdhsa_dx10_clamp 1
		.amdhsa_ieee_mode 1
		.amdhsa_fp16_overflow 0
		.amdhsa_exception_fp_ieee_invalid_op 0
		.amdhsa_exception_fp_denorm_src 0
		.amdhsa_exception_fp_ieee_div_zero 0
		.amdhsa_exception_fp_ieee_overflow 0
		.amdhsa_exception_fp_ieee_underflow 0
		.amdhsa_exception_fp_ieee_inexact 0
		.amdhsa_exception_int_div_zero 0
	.end_amdhsa_kernel
	.section	.text._ZL27rocblas_axpy_kernel_batchedIiLi128ELi8E19rocblas_complex_numIdES1_PKS1_PS1_EviT3_lT4_lT_lT5_lS7_li,"axG",@progbits,_ZL27rocblas_axpy_kernel_batchedIiLi128ELi8E19rocblas_complex_numIdES1_PKS1_PS1_EviT3_lT4_lT_lT5_lS7_li,comdat
.Lfunc_end43:
	.size	_ZL27rocblas_axpy_kernel_batchedIiLi128ELi8E19rocblas_complex_numIdES1_PKS1_PS1_EviT3_lT4_lT_lT5_lS7_li, .Lfunc_end43-_ZL27rocblas_axpy_kernel_batchedIiLi128ELi8E19rocblas_complex_numIdES1_PKS1_PS1_EviT3_lT4_lT_lT5_lS7_li
                                        ; -- End function
	.set _ZL27rocblas_axpy_kernel_batchedIiLi128ELi8E19rocblas_complex_numIdES1_PKS1_PS1_EviT3_lT4_lT_lT5_lS7_li.num_vgpr, 18
	.set _ZL27rocblas_axpy_kernel_batchedIiLi128ELi8E19rocblas_complex_numIdES1_PKS1_PS1_EviT3_lT4_lT_lT5_lS7_li.num_agpr, 0
	.set _ZL27rocblas_axpy_kernel_batchedIiLi128ELi8E19rocblas_complex_numIdES1_PKS1_PS1_EviT3_lT4_lT_lT5_lS7_li.numbered_sgpr, 23
	.set _ZL27rocblas_axpy_kernel_batchedIiLi128ELi8E19rocblas_complex_numIdES1_PKS1_PS1_EviT3_lT4_lT_lT5_lS7_li.num_named_barrier, 0
	.set _ZL27rocblas_axpy_kernel_batchedIiLi128ELi8E19rocblas_complex_numIdES1_PKS1_PS1_EviT3_lT4_lT_lT5_lS7_li.private_seg_size, 0
	.set _ZL27rocblas_axpy_kernel_batchedIiLi128ELi8E19rocblas_complex_numIdES1_PKS1_PS1_EviT3_lT4_lT_lT5_lS7_li.uses_vcc, 1
	.set _ZL27rocblas_axpy_kernel_batchedIiLi128ELi8E19rocblas_complex_numIdES1_PKS1_PS1_EviT3_lT4_lT_lT5_lS7_li.uses_flat_scratch, 0
	.set _ZL27rocblas_axpy_kernel_batchedIiLi128ELi8E19rocblas_complex_numIdES1_PKS1_PS1_EviT3_lT4_lT_lT5_lS7_li.has_dyn_sized_stack, 0
	.set _ZL27rocblas_axpy_kernel_batchedIiLi128ELi8E19rocblas_complex_numIdES1_PKS1_PS1_EviT3_lT4_lT_lT5_lS7_li.has_recursion, 0
	.set _ZL27rocblas_axpy_kernel_batchedIiLi128ELi8E19rocblas_complex_numIdES1_PKS1_PS1_EviT3_lT4_lT_lT5_lS7_li.has_indirect_call, 0
	.section	.AMDGPU.csdata,"",@progbits
; Kernel info:
; codeLenInByte = 928
; TotalNumSgprs: 27
; NumVgprs: 18
; ScratchSize: 0
; MemoryBound: 0
; FloatMode: 240
; IeeeMode: 1
; LDSByteSize: 0 bytes/workgroup (compile time only)
; SGPRBlocks: 3
; VGPRBlocks: 4
; NumSGPRsForWavesPerEU: 27
; NumVGPRsForWavesPerEU: 18
; Occupancy: 10
; WaveLimiterHint : 1
; COMPUTE_PGM_RSRC2:SCRATCH_EN: 0
; COMPUTE_PGM_RSRC2:USER_SGPR: 6
; COMPUTE_PGM_RSRC2:TRAP_HANDLER: 0
; COMPUTE_PGM_RSRC2:TGID_X_EN: 1
; COMPUTE_PGM_RSRC2:TGID_Y_EN: 0
; COMPUTE_PGM_RSRC2:TGID_Z_EN: 1
; COMPUTE_PGM_RSRC2:TIDIG_COMP_CNT: 1
	.section	.text._ZL19rocblas_axpy_kernelIiLi256E19rocblas_complex_numIdEPKS1_S3_PS1_EviT2_lT3_lT_lT4_lS7_li,"axG",@progbits,_ZL19rocblas_axpy_kernelIiLi256E19rocblas_complex_numIdEPKS1_S3_PS1_EviT2_lT3_lT_lT4_lS7_li,comdat
	.globl	_ZL19rocblas_axpy_kernelIiLi256E19rocblas_complex_numIdEPKS1_S3_PS1_EviT2_lT3_lT_lT4_lS7_li ; -- Begin function _ZL19rocblas_axpy_kernelIiLi256E19rocblas_complex_numIdEPKS1_S3_PS1_EviT2_lT3_lT_lT4_lS7_li
	.p2align	8
	.type	_ZL19rocblas_axpy_kernelIiLi256E19rocblas_complex_numIdEPKS1_S3_PS1_EviT2_lT3_lT_lT4_lS7_li,@function
_ZL19rocblas_axpy_kernelIiLi256E19rocblas_complex_numIdEPKS1_S3_PS1_EviT2_lT3_lT_lT4_lS7_li: ; @_ZL19rocblas_axpy_kernelIiLi256E19rocblas_complex_numIdEPKS1_S3_PS1_EviT2_lT3_lT_lT4_lS7_li
; %bb.0:
	s_load_dword s8, s[4:5], 0x0
	s_load_dwordx4 s[0:3], s[4:5], 0x8
	v_lshl_or_b32 v0, s6, 8, v0
	v_mov_b32_e32 v1, 0
	s_waitcnt lgkmcnt(0)
	s_ashr_i32 s9, s8, 31
	s_mul_i32 s3, s3, s7
	s_mul_hi_u32 s10, s2, s7
	s_add_i32 s3, s10, s3
	s_mul_i32 s2, s2, s7
	s_lshl_b64 s[2:3], s[2:3], 4
	s_add_u32 s10, s0, s2
	s_addc_u32 s11, s1, s3
	s_load_dwordx4 s[0:3], s[10:11], 0x0
	v_cmp_gt_i64_e32 vcc, s[8:9], v[0:1]
	s_waitcnt lgkmcnt(0)
	v_cmp_neq_f64_e64 s[10:11], s[0:1], 0
	v_cmp_neq_f64_e64 s[12:13], s[2:3], 0
	s_or_b64 s[8:9], s[10:11], s[12:13]
	s_and_b64 s[8:9], vcc, s[8:9]
	s_and_saveexec_b64 s[10:11], s[8:9]
	s_cbranch_execz .LBB44_2
; %bb.1:
	s_load_dword s6, s[4:5], 0x28
	s_load_dwordx4 s[12:15], s[4:5], 0x18
	s_waitcnt lgkmcnt(0)
	v_mad_u64_u32 v[1:2], s[8:9], s6, v0, 0
	s_load_dwordx4 s[8:11], s[4:5], 0x30
	s_load_dwordx2 s[16:17], s[4:5], 0x40
	s_load_dword s20, s[4:5], 0x48
	s_ashr_i32 s6, s6, 31
	v_mad_u64_u32 v[2:3], s[18:19], s6, v0, v[2:3]
	s_waitcnt lgkmcnt(0)
	s_mul_i32 s9, s9, s7
	s_mul_hi_u32 s18, s8, s7
	s_add_i32 s9, s18, s9
	s_mul_i32 s8, s8, s7
	s_ashr_i32 s6, s20, 31
	s_lshl_b64 s[8:9], s[8:9], 4
	s_add_u32 s12, s12, s8
	s_addc_u32 s18, s13, s9
	s_lshl_b64 s[8:9], s[14:15], 4
	s_add_u32 s14, s12, s8
	v_mad_u64_u32 v[4:5], s[12:13], s20, v0, 0
	v_lshlrev_b64 v[1:2], 4, v[1:2]
	s_addc_u32 s8, s18, s9
	v_mov_b32_e32 v3, v5
	v_mov_b32_e32 v7, s8
	v_mad_u64_u32 v[5:6], s[8:9], s6, v0, v[3:4]
	v_add_co_u32_e32 v0, vcc, s14, v1
	v_addc_co_u32_e32 v1, vcc, v7, v2, vcc
	global_load_dwordx4 v[0:3], v[0:1], off
	s_load_dwordx2 s[4:5], s[4:5], 0x50
	v_lshlrev_b64 v[4:5], 4, v[4:5]
	s_waitcnt lgkmcnt(0)
	s_mul_i32 s5, s5, s7
	s_mul_hi_u32 s6, s4, s7
	s_add_i32 s5, s6, s5
	s_mul_i32 s4, s4, s7
	s_lshl_b64 s[4:5], s[4:5], 4
	s_add_u32 s6, s10, s4
	s_addc_u32 s7, s11, s5
	s_lshl_b64 s[4:5], s[16:17], 4
	s_add_u32 s4, s6, s4
	s_addc_u32 s5, s7, s5
	v_mov_b32_e32 v6, s5
	v_add_co_u32_e32 v8, vcc, s4, v4
	v_addc_co_u32_e32 v9, vcc, v6, v5, vcc
	global_load_dwordx4 v[4:7], v[8:9], off
	s_waitcnt vmcnt(1)
	v_mul_f64 v[10:11], s[2:3], v[2:3]
	v_mul_f64 v[2:3], s[0:1], v[2:3]
	v_fma_f64 v[10:11], s[0:1], v[0:1], -v[10:11]
	v_fma_f64 v[2:3], s[2:3], v[0:1], v[2:3]
	s_waitcnt vmcnt(0)
	v_add_f64 v[0:1], v[4:5], v[10:11]
	v_add_f64 v[2:3], v[2:3], v[6:7]
	global_store_dwordx4 v[8:9], v[0:3], off
.LBB44_2:
	s_endpgm
	.section	.rodata,"a",@progbits
	.p2align	6, 0x0
	.amdhsa_kernel _ZL19rocblas_axpy_kernelIiLi256E19rocblas_complex_numIdEPKS1_S3_PS1_EviT2_lT3_lT_lT4_lS7_li
		.amdhsa_group_segment_fixed_size 0
		.amdhsa_private_segment_fixed_size 0
		.amdhsa_kernarg_size 92
		.amdhsa_user_sgpr_count 6
		.amdhsa_user_sgpr_private_segment_buffer 1
		.amdhsa_user_sgpr_dispatch_ptr 0
		.amdhsa_user_sgpr_queue_ptr 0
		.amdhsa_user_sgpr_kernarg_segment_ptr 1
		.amdhsa_user_sgpr_dispatch_id 0
		.amdhsa_user_sgpr_flat_scratch_init 0
		.amdhsa_user_sgpr_private_segment_size 0
		.amdhsa_uses_dynamic_stack 0
		.amdhsa_system_sgpr_private_segment_wavefront_offset 0
		.amdhsa_system_sgpr_workgroup_id_x 1
		.amdhsa_system_sgpr_workgroup_id_y 0
		.amdhsa_system_sgpr_workgroup_id_z 1
		.amdhsa_system_sgpr_workgroup_info 0
		.amdhsa_system_vgpr_workitem_id 0
		.amdhsa_next_free_vgpr 12
		.amdhsa_next_free_sgpr 21
		.amdhsa_reserve_vcc 1
		.amdhsa_reserve_flat_scratch 0
		.amdhsa_float_round_mode_32 0
		.amdhsa_float_round_mode_16_64 0
		.amdhsa_float_denorm_mode_32 3
		.amdhsa_float_denorm_mode_16_64 3
		.amdhsa_dx10_clamp 1
		.amdhsa_ieee_mode 1
		.amdhsa_fp16_overflow 0
		.amdhsa_exception_fp_ieee_invalid_op 0
		.amdhsa_exception_fp_denorm_src 0
		.amdhsa_exception_fp_ieee_div_zero 0
		.amdhsa_exception_fp_ieee_overflow 0
		.amdhsa_exception_fp_ieee_underflow 0
		.amdhsa_exception_fp_ieee_inexact 0
		.amdhsa_exception_int_div_zero 0
	.end_amdhsa_kernel
	.section	.text._ZL19rocblas_axpy_kernelIiLi256E19rocblas_complex_numIdEPKS1_S3_PS1_EviT2_lT3_lT_lT4_lS7_li,"axG",@progbits,_ZL19rocblas_axpy_kernelIiLi256E19rocblas_complex_numIdEPKS1_S3_PS1_EviT2_lT3_lT_lT4_lS7_li,comdat
.Lfunc_end44:
	.size	_ZL19rocblas_axpy_kernelIiLi256E19rocblas_complex_numIdEPKS1_S3_PS1_EviT2_lT3_lT_lT4_lS7_li, .Lfunc_end44-_ZL19rocblas_axpy_kernelIiLi256E19rocblas_complex_numIdEPKS1_S3_PS1_EviT2_lT3_lT_lT4_lS7_li
                                        ; -- End function
	.set _ZL19rocblas_axpy_kernelIiLi256E19rocblas_complex_numIdEPKS1_S3_PS1_EviT2_lT3_lT_lT4_lS7_li.num_vgpr, 12
	.set _ZL19rocblas_axpy_kernelIiLi256E19rocblas_complex_numIdEPKS1_S3_PS1_EviT2_lT3_lT_lT4_lS7_li.num_agpr, 0
	.set _ZL19rocblas_axpy_kernelIiLi256E19rocblas_complex_numIdEPKS1_S3_PS1_EviT2_lT3_lT_lT4_lS7_li.numbered_sgpr, 21
	.set _ZL19rocblas_axpy_kernelIiLi256E19rocblas_complex_numIdEPKS1_S3_PS1_EviT2_lT3_lT_lT4_lS7_li.num_named_barrier, 0
	.set _ZL19rocblas_axpy_kernelIiLi256E19rocblas_complex_numIdEPKS1_S3_PS1_EviT2_lT3_lT_lT4_lS7_li.private_seg_size, 0
	.set _ZL19rocblas_axpy_kernelIiLi256E19rocblas_complex_numIdEPKS1_S3_PS1_EviT2_lT3_lT_lT4_lS7_li.uses_vcc, 1
	.set _ZL19rocblas_axpy_kernelIiLi256E19rocblas_complex_numIdEPKS1_S3_PS1_EviT2_lT3_lT_lT4_lS7_li.uses_flat_scratch, 0
	.set _ZL19rocblas_axpy_kernelIiLi256E19rocblas_complex_numIdEPKS1_S3_PS1_EviT2_lT3_lT_lT4_lS7_li.has_dyn_sized_stack, 0
	.set _ZL19rocblas_axpy_kernelIiLi256E19rocblas_complex_numIdEPKS1_S3_PS1_EviT2_lT3_lT_lT4_lS7_li.has_recursion, 0
	.set _ZL19rocblas_axpy_kernelIiLi256E19rocblas_complex_numIdEPKS1_S3_PS1_EviT2_lT3_lT_lT4_lS7_li.has_indirect_call, 0
	.section	.AMDGPU.csdata,"",@progbits
; Kernel info:
; codeLenInByte = 420
; TotalNumSgprs: 25
; NumVgprs: 12
; ScratchSize: 0
; MemoryBound: 0
; FloatMode: 240
; IeeeMode: 1
; LDSByteSize: 0 bytes/workgroup (compile time only)
; SGPRBlocks: 3
; VGPRBlocks: 2
; NumSGPRsForWavesPerEU: 25
; NumVGPRsForWavesPerEU: 12
; Occupancy: 10
; WaveLimiterHint : 0
; COMPUTE_PGM_RSRC2:SCRATCH_EN: 0
; COMPUTE_PGM_RSRC2:USER_SGPR: 6
; COMPUTE_PGM_RSRC2:TRAP_HANDLER: 0
; COMPUTE_PGM_RSRC2:TGID_X_EN: 1
; COMPUTE_PGM_RSRC2:TGID_Y_EN: 0
; COMPUTE_PGM_RSRC2:TGID_Z_EN: 1
; COMPUTE_PGM_RSRC2:TIDIG_COMP_CNT: 0
	.section	.text._ZL19rocblas_axpy_kernelIiLi256E19rocblas_complex_numIdES1_PKS1_PS1_EviT2_lT3_lT_lT4_lS7_li,"axG",@progbits,_ZL19rocblas_axpy_kernelIiLi256E19rocblas_complex_numIdES1_PKS1_PS1_EviT2_lT3_lT_lT4_lS7_li,comdat
	.globl	_ZL19rocblas_axpy_kernelIiLi256E19rocblas_complex_numIdES1_PKS1_PS1_EviT2_lT3_lT_lT4_lS7_li ; -- Begin function _ZL19rocblas_axpy_kernelIiLi256E19rocblas_complex_numIdES1_PKS1_PS1_EviT2_lT3_lT_lT4_lS7_li
	.p2align	8
	.type	_ZL19rocblas_axpy_kernelIiLi256E19rocblas_complex_numIdES1_PKS1_PS1_EviT2_lT3_lT_lT4_lS7_li,@function
_ZL19rocblas_axpy_kernelIiLi256E19rocblas_complex_numIdES1_PKS1_PS1_EviT2_lT3_lT_lT4_lS7_li: ; @_ZL19rocblas_axpy_kernelIiLi256E19rocblas_complex_numIdES1_PKS1_PS1_EviT2_lT3_lT_lT4_lS7_li
; %bb.0:
	s_load_dwordx4 s[0:3], s[4:5], 0x8
	s_load_dword s8, s[4:5], 0x0
	v_lshl_or_b32 v0, s6, 8, v0
	v_mov_b32_e32 v1, 0
	s_waitcnt lgkmcnt(0)
	v_cmp_neq_f64_e64 s[10:11], s[0:1], 0
	v_cmp_neq_f64_e64 s[12:13], s[2:3], 0
	s_ashr_i32 s9, s8, 31
	v_cmp_gt_i64_e32 vcc, s[8:9], v[0:1]
	s_or_b64 s[8:9], s[10:11], s[12:13]
	s_and_b64 s[8:9], vcc, s[8:9]
	s_and_saveexec_b64 s[10:11], s[8:9]
	s_cbranch_execz .LBB45_2
; %bb.1:
	s_load_dword s6, s[4:5], 0x30
	s_load_dwordx4 s[12:15], s[4:5], 0x20
	s_waitcnt lgkmcnt(0)
	v_mad_u64_u32 v[1:2], s[8:9], s6, v0, 0
	s_load_dwordx4 s[8:11], s[4:5], 0x38
	s_load_dwordx2 s[16:17], s[4:5], 0x48
	s_load_dword s20, s[4:5], 0x50
	s_ashr_i32 s6, s6, 31
	v_mad_u64_u32 v[2:3], s[18:19], s6, v0, v[2:3]
	s_waitcnt lgkmcnt(0)
	s_mul_i32 s9, s9, s7
	s_mul_hi_u32 s18, s8, s7
	s_add_i32 s9, s18, s9
	s_mul_i32 s8, s8, s7
	s_ashr_i32 s6, s20, 31
	s_lshl_b64 s[8:9], s[8:9], 4
	s_add_u32 s12, s12, s8
	s_addc_u32 s18, s13, s9
	s_lshl_b64 s[8:9], s[14:15], 4
	s_add_u32 s14, s12, s8
	v_mad_u64_u32 v[4:5], s[12:13], s20, v0, 0
	v_lshlrev_b64 v[1:2], 4, v[1:2]
	s_addc_u32 s8, s18, s9
	v_mov_b32_e32 v3, v5
	v_mov_b32_e32 v7, s8
	v_mad_u64_u32 v[5:6], s[8:9], s6, v0, v[3:4]
	v_add_co_u32_e32 v0, vcc, s14, v1
	v_addc_co_u32_e32 v1, vcc, v7, v2, vcc
	global_load_dwordx4 v[0:3], v[0:1], off
	s_load_dwordx2 s[4:5], s[4:5], 0x58
	v_lshlrev_b64 v[4:5], 4, v[4:5]
	s_waitcnt lgkmcnt(0)
	s_mul_i32 s5, s5, s7
	s_mul_hi_u32 s6, s4, s7
	s_add_i32 s5, s6, s5
	s_mul_i32 s4, s4, s7
	s_lshl_b64 s[4:5], s[4:5], 4
	s_add_u32 s6, s10, s4
	s_addc_u32 s7, s11, s5
	s_lshl_b64 s[4:5], s[16:17], 4
	s_add_u32 s4, s6, s4
	s_addc_u32 s5, s7, s5
	v_mov_b32_e32 v6, s5
	v_add_co_u32_e32 v8, vcc, s4, v4
	v_addc_co_u32_e32 v9, vcc, v6, v5, vcc
	global_load_dwordx4 v[4:7], v[8:9], off
	s_waitcnt vmcnt(1)
	v_mul_f64 v[10:11], s[2:3], v[2:3]
	v_mul_f64 v[2:3], s[0:1], v[2:3]
	v_fma_f64 v[10:11], s[0:1], v[0:1], -v[10:11]
	v_fma_f64 v[2:3], s[2:3], v[0:1], v[2:3]
	s_waitcnt vmcnt(0)
	v_add_f64 v[0:1], v[4:5], v[10:11]
	v_add_f64 v[2:3], v[2:3], v[6:7]
	global_store_dwordx4 v[8:9], v[0:3], off
.LBB45_2:
	s_endpgm
	.section	.rodata,"a",@progbits
	.p2align	6, 0x0
	.amdhsa_kernel _ZL19rocblas_axpy_kernelIiLi256E19rocblas_complex_numIdES1_PKS1_PS1_EviT2_lT3_lT_lT4_lS7_li
		.amdhsa_group_segment_fixed_size 0
		.amdhsa_private_segment_fixed_size 0
		.amdhsa_kernarg_size 100
		.amdhsa_user_sgpr_count 6
		.amdhsa_user_sgpr_private_segment_buffer 1
		.amdhsa_user_sgpr_dispatch_ptr 0
		.amdhsa_user_sgpr_queue_ptr 0
		.amdhsa_user_sgpr_kernarg_segment_ptr 1
		.amdhsa_user_sgpr_dispatch_id 0
		.amdhsa_user_sgpr_flat_scratch_init 0
		.amdhsa_user_sgpr_private_segment_size 0
		.amdhsa_uses_dynamic_stack 0
		.amdhsa_system_sgpr_private_segment_wavefront_offset 0
		.amdhsa_system_sgpr_workgroup_id_x 1
		.amdhsa_system_sgpr_workgroup_id_y 0
		.amdhsa_system_sgpr_workgroup_id_z 1
		.amdhsa_system_sgpr_workgroup_info 0
		.amdhsa_system_vgpr_workitem_id 0
		.amdhsa_next_free_vgpr 12
		.amdhsa_next_free_sgpr 21
		.amdhsa_reserve_vcc 1
		.amdhsa_reserve_flat_scratch 0
		.amdhsa_float_round_mode_32 0
		.amdhsa_float_round_mode_16_64 0
		.amdhsa_float_denorm_mode_32 3
		.amdhsa_float_denorm_mode_16_64 3
		.amdhsa_dx10_clamp 1
		.amdhsa_ieee_mode 1
		.amdhsa_fp16_overflow 0
		.amdhsa_exception_fp_ieee_invalid_op 0
		.amdhsa_exception_fp_denorm_src 0
		.amdhsa_exception_fp_ieee_div_zero 0
		.amdhsa_exception_fp_ieee_overflow 0
		.amdhsa_exception_fp_ieee_underflow 0
		.amdhsa_exception_fp_ieee_inexact 0
		.amdhsa_exception_int_div_zero 0
	.end_amdhsa_kernel
	.section	.text._ZL19rocblas_axpy_kernelIiLi256E19rocblas_complex_numIdES1_PKS1_PS1_EviT2_lT3_lT_lT4_lS7_li,"axG",@progbits,_ZL19rocblas_axpy_kernelIiLi256E19rocblas_complex_numIdES1_PKS1_PS1_EviT2_lT3_lT_lT4_lS7_li,comdat
.Lfunc_end45:
	.size	_ZL19rocblas_axpy_kernelIiLi256E19rocblas_complex_numIdES1_PKS1_PS1_EviT2_lT3_lT_lT4_lS7_li, .Lfunc_end45-_ZL19rocblas_axpy_kernelIiLi256E19rocblas_complex_numIdES1_PKS1_PS1_EviT2_lT3_lT_lT4_lS7_li
                                        ; -- End function
	.set _ZL19rocblas_axpy_kernelIiLi256E19rocblas_complex_numIdES1_PKS1_PS1_EviT2_lT3_lT_lT4_lS7_li.num_vgpr, 12
	.set _ZL19rocblas_axpy_kernelIiLi256E19rocblas_complex_numIdES1_PKS1_PS1_EviT2_lT3_lT_lT4_lS7_li.num_agpr, 0
	.set _ZL19rocblas_axpy_kernelIiLi256E19rocblas_complex_numIdES1_PKS1_PS1_EviT2_lT3_lT_lT4_lS7_li.numbered_sgpr, 21
	.set _ZL19rocblas_axpy_kernelIiLi256E19rocblas_complex_numIdES1_PKS1_PS1_EviT2_lT3_lT_lT4_lS7_li.num_named_barrier, 0
	.set _ZL19rocblas_axpy_kernelIiLi256E19rocblas_complex_numIdES1_PKS1_PS1_EviT2_lT3_lT_lT4_lS7_li.private_seg_size, 0
	.set _ZL19rocblas_axpy_kernelIiLi256E19rocblas_complex_numIdES1_PKS1_PS1_EviT2_lT3_lT_lT4_lS7_li.uses_vcc, 1
	.set _ZL19rocblas_axpy_kernelIiLi256E19rocblas_complex_numIdES1_PKS1_PS1_EviT2_lT3_lT_lT4_lS7_li.uses_flat_scratch, 0
	.set _ZL19rocblas_axpy_kernelIiLi256E19rocblas_complex_numIdES1_PKS1_PS1_EviT2_lT3_lT_lT4_lS7_li.has_dyn_sized_stack, 0
	.set _ZL19rocblas_axpy_kernelIiLi256E19rocblas_complex_numIdES1_PKS1_PS1_EviT2_lT3_lT_lT4_lS7_li.has_recursion, 0
	.set _ZL19rocblas_axpy_kernelIiLi256E19rocblas_complex_numIdES1_PKS1_PS1_EviT2_lT3_lT_lT4_lS7_li.has_indirect_call, 0
	.section	.AMDGPU.csdata,"",@progbits
; Kernel info:
; codeLenInByte = 380
; TotalNumSgprs: 25
; NumVgprs: 12
; ScratchSize: 0
; MemoryBound: 0
; FloatMode: 240
; IeeeMode: 1
; LDSByteSize: 0 bytes/workgroup (compile time only)
; SGPRBlocks: 3
; VGPRBlocks: 2
; NumSGPRsForWavesPerEU: 25
; NumVGPRsForWavesPerEU: 12
; Occupancy: 10
; WaveLimiterHint : 0
; COMPUTE_PGM_RSRC2:SCRATCH_EN: 0
; COMPUTE_PGM_RSRC2:USER_SGPR: 6
; COMPUTE_PGM_RSRC2:TRAP_HANDLER: 0
; COMPUTE_PGM_RSRC2:TGID_X_EN: 1
; COMPUTE_PGM_RSRC2:TGID_Y_EN: 0
; COMPUTE_PGM_RSRC2:TGID_Z_EN: 1
; COMPUTE_PGM_RSRC2:TIDIG_COMP_CNT: 0
	.section	.text._ZL22rocblas_saxpy_2_kernelILi256EDF16_PKDF16_PKS1_PKPDF16_EviT1_lT2_llT3_lli,"axG",@progbits,_ZL22rocblas_saxpy_2_kernelILi256EDF16_PKDF16_PKS1_PKPDF16_EviT1_lT2_llT3_lli,comdat
	.globl	_ZL22rocblas_saxpy_2_kernelILi256EDF16_PKDF16_PKS1_PKPDF16_EviT1_lT2_llT3_lli ; -- Begin function _ZL22rocblas_saxpy_2_kernelILi256EDF16_PKDF16_PKS1_PKPDF16_EviT1_lT2_llT3_lli
	.p2align	8
	.type	_ZL22rocblas_saxpy_2_kernelILi256EDF16_PKDF16_PKS1_PKPDF16_EviT1_lT2_llT3_lli,@function
_ZL22rocblas_saxpy_2_kernelILi256EDF16_PKDF16_PKS1_PKPDF16_EviT1_lT2_llT3_lli: ; @_ZL22rocblas_saxpy_2_kernelILi256EDF16_PKDF16_PKS1_PKPDF16_EviT1_lT2_llT3_lli
; %bb.0:
	s_load_dwordx4 s[8:11], s[4:5], 0x8
	v_mov_b32_e32 v1, 0
	s_waitcnt lgkmcnt(0)
	s_mul_i32 s1, s11, s7
	s_mul_hi_u32 s2, s10, s7
	s_add_i32 s3, s2, s1
	s_mul_i32 s2, s10, s7
	s_lshl_b64 s[2:3], s[2:3], 1
	s_add_u32 s2, s8, s2
	s_addc_u32 s3, s9, s3
	global_load_ushort v4, v1, s[2:3]
	s_mov_b32 s1, 0
	s_waitcnt vmcnt(0)
	v_cmp_eq_f16_e32 vcc, 0, v4
	s_cbranch_vccnz .LBB46_5
; %bb.1:
	s_mov_b32 s0, s7
	s_load_dwordx4 s[8:11], s[4:5], 0x18
	s_load_dword s7, s[4:5], 0x0
	s_lshl_b64 s[12:13], s[0:1], 3
	v_lshlrev_b32_e32 v0, 1, v0
	v_lshl_or_b32 v0, s6, 9, v0
	s_waitcnt lgkmcnt(0)
	s_add_u32 s8, s8, s12
	s_addc_u32 s9, s9, s13
	s_load_dwordx2 s[14:15], s[8:9], 0x0
	s_load_dwordx4 s[0:3], s[4:5], 0x30
	s_lshl_b64 s[4:5], s[10:11], 1
	v_lshlrev_b64 v[2:3], 1, v[0:1]
	s_waitcnt lgkmcnt(0)
	s_add_u32 s4, s14, s4
	s_addc_u32 s5, s15, s5
	s_add_u32 s0, s0, s12
	s_addc_u32 s1, s1, s13
	s_load_dwordx2 s[0:1], s[0:1], 0x0
	s_lshl_b64 s[2:3], s[2:3], 1
	s_waitcnt lgkmcnt(0)
	s_add_u32 s6, s0, s2
	s_addc_u32 s8, s1, s3
	s_add_i32 s0, s7, -1
	s_ashr_i32 s1, s0, 31
	v_cmp_gt_i64_e32 vcc, s[0:1], v[0:1]
	s_and_saveexec_b64 s[2:3], vcc
	s_cbranch_execz .LBB46_3
; %bb.2:
	v_mov_b32_e32 v6, s8
	v_add_co_u32_e32 v5, vcc, s6, v2
	v_addc_co_u32_e32 v6, vcc, v6, v3, vcc
	v_mov_b32_e32 v8, s5
	v_add_co_u32_e32 v7, vcc, s4, v2
	v_addc_co_u32_e32 v8, vcc, v8, v3, vcc
	flat_load_dword v9, v[5:6]
	flat_load_ushort v10, v[7:8]
	s_waitcnt vmcnt(0) lgkmcnt(0)
	v_fma_f16 v10, v4, v10, v9
	flat_store_short v[5:6], v10
	flat_load_ushort v7, v[7:8] offset:2
	v_lshrrev_b32_e32 v8, 16, v9
	s_waitcnt vmcnt(0) lgkmcnt(0)
	v_fma_f16 v7, v4, v7, v8
	flat_store_short v[5:6], v7 offset:2
.LBB46_3:
	s_or_b64 exec, exec, s[2:3]
	s_bitcmp1_b32 s7, 0
	v_cmp_eq_u64_e32 vcc, s[0:1], v[0:1]
	s_cselect_b64 s[0:1], -1, 0
	s_and_b64 s[0:1], s[0:1], vcc
	s_and_saveexec_b64 s[2:3], s[0:1]
	s_cbranch_execz .LBB46_5
; %bb.4:
	v_mov_b32_e32 v1, s8
	v_add_co_u32_e32 v0, vcc, s6, v2
	v_addc_co_u32_e32 v1, vcc, v1, v3, vcc
	v_mov_b32_e32 v6, s5
	v_add_co_u32_e32 v2, vcc, s4, v2
	v_addc_co_u32_e32 v3, vcc, v6, v3, vcc
	flat_load_ushort v5, v[0:1]
	s_nop 0
	flat_load_ushort v2, v[2:3]
	s_waitcnt vmcnt(0) lgkmcnt(0)
	v_fma_f16 v2, v4, v2, v5
	flat_store_short v[0:1], v2
.LBB46_5:
	s_endpgm
	.section	.rodata,"a",@progbits
	.p2align	6, 0x0
	.amdhsa_kernel _ZL22rocblas_saxpy_2_kernelILi256EDF16_PKDF16_PKS1_PKPDF16_EviT1_lT2_llT3_lli
		.amdhsa_group_segment_fixed_size 0
		.amdhsa_private_segment_fixed_size 0
		.amdhsa_kernarg_size 76
		.amdhsa_user_sgpr_count 6
		.amdhsa_user_sgpr_private_segment_buffer 1
		.amdhsa_user_sgpr_dispatch_ptr 0
		.amdhsa_user_sgpr_queue_ptr 0
		.amdhsa_user_sgpr_kernarg_segment_ptr 1
		.amdhsa_user_sgpr_dispatch_id 0
		.amdhsa_user_sgpr_flat_scratch_init 0
		.amdhsa_user_sgpr_private_segment_size 0
		.amdhsa_uses_dynamic_stack 0
		.amdhsa_system_sgpr_private_segment_wavefront_offset 0
		.amdhsa_system_sgpr_workgroup_id_x 1
		.amdhsa_system_sgpr_workgroup_id_y 0
		.amdhsa_system_sgpr_workgroup_id_z 1
		.amdhsa_system_sgpr_workgroup_info 0
		.amdhsa_system_vgpr_workitem_id 0
		.amdhsa_next_free_vgpr 11
		.amdhsa_next_free_sgpr 16
		.amdhsa_reserve_vcc 1
		.amdhsa_reserve_flat_scratch 0
		.amdhsa_float_round_mode_32 0
		.amdhsa_float_round_mode_16_64 0
		.amdhsa_float_denorm_mode_32 3
		.amdhsa_float_denorm_mode_16_64 3
		.amdhsa_dx10_clamp 1
		.amdhsa_ieee_mode 1
		.amdhsa_fp16_overflow 0
		.amdhsa_exception_fp_ieee_invalid_op 0
		.amdhsa_exception_fp_denorm_src 0
		.amdhsa_exception_fp_ieee_div_zero 0
		.amdhsa_exception_fp_ieee_overflow 0
		.amdhsa_exception_fp_ieee_underflow 0
		.amdhsa_exception_fp_ieee_inexact 0
		.amdhsa_exception_int_div_zero 0
	.end_amdhsa_kernel
	.section	.text._ZL22rocblas_saxpy_2_kernelILi256EDF16_PKDF16_PKS1_PKPDF16_EviT1_lT2_llT3_lli,"axG",@progbits,_ZL22rocblas_saxpy_2_kernelILi256EDF16_PKDF16_PKS1_PKPDF16_EviT1_lT2_llT3_lli,comdat
.Lfunc_end46:
	.size	_ZL22rocblas_saxpy_2_kernelILi256EDF16_PKDF16_PKS1_PKPDF16_EviT1_lT2_llT3_lli, .Lfunc_end46-_ZL22rocblas_saxpy_2_kernelILi256EDF16_PKDF16_PKS1_PKPDF16_EviT1_lT2_llT3_lli
                                        ; -- End function
	.set _ZL22rocblas_saxpy_2_kernelILi256EDF16_PKDF16_PKS1_PKPDF16_EviT1_lT2_llT3_lli.num_vgpr, 11
	.set _ZL22rocblas_saxpy_2_kernelILi256EDF16_PKDF16_PKS1_PKPDF16_EviT1_lT2_llT3_lli.num_agpr, 0
	.set _ZL22rocblas_saxpy_2_kernelILi256EDF16_PKDF16_PKS1_PKPDF16_EviT1_lT2_llT3_lli.numbered_sgpr, 16
	.set _ZL22rocblas_saxpy_2_kernelILi256EDF16_PKDF16_PKS1_PKPDF16_EviT1_lT2_llT3_lli.num_named_barrier, 0
	.set _ZL22rocblas_saxpy_2_kernelILi256EDF16_PKDF16_PKS1_PKPDF16_EviT1_lT2_llT3_lli.private_seg_size, 0
	.set _ZL22rocblas_saxpy_2_kernelILi256EDF16_PKDF16_PKS1_PKPDF16_EviT1_lT2_llT3_lli.uses_vcc, 1
	.set _ZL22rocblas_saxpy_2_kernelILi256EDF16_PKDF16_PKS1_PKPDF16_EviT1_lT2_llT3_lli.uses_flat_scratch, 0
	.set _ZL22rocblas_saxpy_2_kernelILi256EDF16_PKDF16_PKS1_PKPDF16_EviT1_lT2_llT3_lli.has_dyn_sized_stack, 0
	.set _ZL22rocblas_saxpy_2_kernelILi256EDF16_PKDF16_PKS1_PKPDF16_EviT1_lT2_llT3_lli.has_recursion, 0
	.set _ZL22rocblas_saxpy_2_kernelILi256EDF16_PKDF16_PKS1_PKPDF16_EviT1_lT2_llT3_lli.has_indirect_call, 0
	.section	.AMDGPU.csdata,"",@progbits
; Kernel info:
; codeLenInByte = 396
; TotalNumSgprs: 20
; NumVgprs: 11
; ScratchSize: 0
; MemoryBound: 0
; FloatMode: 240
; IeeeMode: 1
; LDSByteSize: 0 bytes/workgroup (compile time only)
; SGPRBlocks: 2
; VGPRBlocks: 2
; NumSGPRsForWavesPerEU: 20
; NumVGPRsForWavesPerEU: 11
; Occupancy: 10
; WaveLimiterHint : 1
; COMPUTE_PGM_RSRC2:SCRATCH_EN: 0
; COMPUTE_PGM_RSRC2:USER_SGPR: 6
; COMPUTE_PGM_RSRC2:TRAP_HANDLER: 0
; COMPUTE_PGM_RSRC2:TGID_X_EN: 1
; COMPUTE_PGM_RSRC2:TGID_Y_EN: 0
; COMPUTE_PGM_RSRC2:TGID_Z_EN: 1
; COMPUTE_PGM_RSRC2:TIDIG_COMP_CNT: 0
	.section	.text._ZL22rocblas_saxpy_2_kernelILi256EDF16_DF16_PKPKDF16_PKPDF16_EviT1_lT2_llT3_lli,"axG",@progbits,_ZL22rocblas_saxpy_2_kernelILi256EDF16_DF16_PKPKDF16_PKPDF16_EviT1_lT2_llT3_lli,comdat
	.globl	_ZL22rocblas_saxpy_2_kernelILi256EDF16_DF16_PKPKDF16_PKPDF16_EviT1_lT2_llT3_lli ; -- Begin function _ZL22rocblas_saxpy_2_kernelILi256EDF16_DF16_PKPKDF16_PKPDF16_EviT1_lT2_llT3_lli
	.p2align	8
	.type	_ZL22rocblas_saxpy_2_kernelILi256EDF16_DF16_PKPKDF16_PKPDF16_EviT1_lT2_llT3_lli,@function
_ZL22rocblas_saxpy_2_kernelILi256EDF16_DF16_PKPKDF16_PKPDF16_EviT1_lT2_llT3_lli: ; @_ZL22rocblas_saxpy_2_kernelILi256EDF16_DF16_PKPKDF16_PKPDF16_EviT1_lT2_llT3_lli
; %bb.0:
	s_load_dwordx2 s[0:1], s[4:5], 0x0
	s_mov_b32 s3, 0
	s_waitcnt lgkmcnt(0)
	v_cmp_eq_f16_e64 s[8:9], s1, 0
	s_and_b64 vcc, exec, s[8:9]
	s_cbranch_vccnz .LBB47_5
; %bb.1:
	s_load_dwordx4 s[8:11], s[4:5], 0x10
	s_load_dwordx4 s[12:15], s[4:5], 0x28
	s_mov_b32 s2, s7
	s_lshl_b64 s[2:3], s[2:3], 3
	v_lshlrev_b32_e32 v0, 1, v0
	s_waitcnt lgkmcnt(0)
	s_add_u32 s4, s8, s2
	s_addc_u32 s5, s9, s3
	s_load_dwordx2 s[4:5], s[4:5], 0x0
	s_lshl_b64 s[8:9], s[10:11], 1
	v_lshl_or_b32 v2, s6, 9, v0
	v_mov_b32_e32 v3, 0
	v_lshlrev_b64 v[0:1], 1, v[2:3]
	s_waitcnt lgkmcnt(0)
	s_add_u32 s7, s4, s8
	s_addc_u32 s8, s5, s9
	s_add_u32 s2, s12, s2
	s_addc_u32 s3, s13, s3
	s_load_dwordx2 s[2:3], s[2:3], 0x0
	s_lshl_b64 s[4:5], s[14:15], 1
	s_waitcnt lgkmcnt(0)
	s_add_u32 s6, s2, s4
	s_addc_u32 s9, s3, s5
	s_add_i32 s2, s0, -1
	s_ashr_i32 s3, s2, 31
	v_cmp_gt_i64_e32 vcc, s[2:3], v[2:3]
	s_and_saveexec_b64 s[4:5], vcc
	s_cbranch_execz .LBB47_3
; %bb.2:
	v_mov_b32_e32 v5, s9
	v_add_co_u32_e32 v4, vcc, s6, v0
	v_addc_co_u32_e32 v5, vcc, v5, v1, vcc
	v_mov_b32_e32 v7, s8
	v_add_co_u32_e32 v6, vcc, s7, v0
	v_addc_co_u32_e32 v7, vcc, v7, v1, vcc
	flat_load_dword v8, v[4:5]
	flat_load_ushort v9, v[6:7]
	s_waitcnt vmcnt(0) lgkmcnt(0)
	v_fma_f16 v9, s1, v9, v8
	flat_store_short v[4:5], v9
	flat_load_ushort v6, v[6:7] offset:2
	v_lshrrev_b32_e32 v7, 16, v8
	s_waitcnt vmcnt(0) lgkmcnt(0)
	v_fma_f16 v6, s1, v6, v7
	flat_store_short v[4:5], v6 offset:2
.LBB47_3:
	s_or_b64 exec, exec, s[4:5]
	s_bitcmp1_b32 s0, 0
	v_cmp_eq_u64_e32 vcc, s[2:3], v[2:3]
	s_cselect_b64 s[2:3], -1, 0
	s_and_b64 s[2:3], s[2:3], vcc
	s_and_saveexec_b64 s[4:5], s[2:3]
	s_cbranch_execz .LBB47_5
; %bb.4:
	v_mov_b32_e32 v3, s9
	v_add_co_u32_e32 v2, vcc, s6, v0
	v_addc_co_u32_e32 v3, vcc, v3, v1, vcc
	v_mov_b32_e32 v5, s8
	v_add_co_u32_e32 v0, vcc, s7, v0
	v_addc_co_u32_e32 v1, vcc, v5, v1, vcc
	flat_load_ushort v4, v[2:3]
	s_nop 0
	flat_load_ushort v0, v[0:1]
	s_waitcnt vmcnt(0) lgkmcnt(0)
	v_fma_f16 v0, s1, v0, v4
	flat_store_short v[2:3], v0
.LBB47_5:
	s_endpgm
	.section	.rodata,"a",@progbits
	.p2align	6, 0x0
	.amdhsa_kernel _ZL22rocblas_saxpy_2_kernelILi256EDF16_DF16_PKPKDF16_PKPDF16_EviT1_lT2_llT3_lli
		.amdhsa_group_segment_fixed_size 0
		.amdhsa_private_segment_fixed_size 0
		.amdhsa_kernarg_size 68
		.amdhsa_user_sgpr_count 6
		.amdhsa_user_sgpr_private_segment_buffer 1
		.amdhsa_user_sgpr_dispatch_ptr 0
		.amdhsa_user_sgpr_queue_ptr 0
		.amdhsa_user_sgpr_kernarg_segment_ptr 1
		.amdhsa_user_sgpr_dispatch_id 0
		.amdhsa_user_sgpr_flat_scratch_init 0
		.amdhsa_user_sgpr_private_segment_size 0
		.amdhsa_uses_dynamic_stack 0
		.amdhsa_system_sgpr_private_segment_wavefront_offset 0
		.amdhsa_system_sgpr_workgroup_id_x 1
		.amdhsa_system_sgpr_workgroup_id_y 0
		.amdhsa_system_sgpr_workgroup_id_z 1
		.amdhsa_system_sgpr_workgroup_info 0
		.amdhsa_system_vgpr_workitem_id 0
		.amdhsa_next_free_vgpr 10
		.amdhsa_next_free_sgpr 16
		.amdhsa_reserve_vcc 1
		.amdhsa_reserve_flat_scratch 0
		.amdhsa_float_round_mode_32 0
		.amdhsa_float_round_mode_16_64 0
		.amdhsa_float_denorm_mode_32 3
		.amdhsa_float_denorm_mode_16_64 3
		.amdhsa_dx10_clamp 1
		.amdhsa_ieee_mode 1
		.amdhsa_fp16_overflow 0
		.amdhsa_exception_fp_ieee_invalid_op 0
		.amdhsa_exception_fp_denorm_src 0
		.amdhsa_exception_fp_ieee_div_zero 0
		.amdhsa_exception_fp_ieee_overflow 0
		.amdhsa_exception_fp_ieee_underflow 0
		.amdhsa_exception_fp_ieee_inexact 0
		.amdhsa_exception_int_div_zero 0
	.end_amdhsa_kernel
	.section	.text._ZL22rocblas_saxpy_2_kernelILi256EDF16_DF16_PKPKDF16_PKPDF16_EviT1_lT2_llT3_lli,"axG",@progbits,_ZL22rocblas_saxpy_2_kernelILi256EDF16_DF16_PKPKDF16_PKPDF16_EviT1_lT2_llT3_lli,comdat
.Lfunc_end47:
	.size	_ZL22rocblas_saxpy_2_kernelILi256EDF16_DF16_PKPKDF16_PKPDF16_EviT1_lT2_llT3_lli, .Lfunc_end47-_ZL22rocblas_saxpy_2_kernelILi256EDF16_DF16_PKPKDF16_PKPDF16_EviT1_lT2_llT3_lli
                                        ; -- End function
	.set _ZL22rocblas_saxpy_2_kernelILi256EDF16_DF16_PKPKDF16_PKPDF16_EviT1_lT2_llT3_lli.num_vgpr, 10
	.set _ZL22rocblas_saxpy_2_kernelILi256EDF16_DF16_PKPKDF16_PKPDF16_EviT1_lT2_llT3_lli.num_agpr, 0
	.set _ZL22rocblas_saxpy_2_kernelILi256EDF16_DF16_PKPKDF16_PKPDF16_EviT1_lT2_llT3_lli.numbered_sgpr, 16
	.set _ZL22rocblas_saxpy_2_kernelILi256EDF16_DF16_PKPKDF16_PKPDF16_EviT1_lT2_llT3_lli.num_named_barrier, 0
	.set _ZL22rocblas_saxpy_2_kernelILi256EDF16_DF16_PKPKDF16_PKPDF16_EviT1_lT2_llT3_lli.private_seg_size, 0
	.set _ZL22rocblas_saxpy_2_kernelILi256EDF16_DF16_PKPKDF16_PKPDF16_EviT1_lT2_llT3_lli.uses_vcc, 1
	.set _ZL22rocblas_saxpy_2_kernelILi256EDF16_DF16_PKPKDF16_PKPDF16_EviT1_lT2_llT3_lli.uses_flat_scratch, 0
	.set _ZL22rocblas_saxpy_2_kernelILi256EDF16_DF16_PKPKDF16_PKPDF16_EviT1_lT2_llT3_lli.has_dyn_sized_stack, 0
	.set _ZL22rocblas_saxpy_2_kernelILi256EDF16_DF16_PKPKDF16_PKPDF16_EviT1_lT2_llT3_lli.has_recursion, 0
	.set _ZL22rocblas_saxpy_2_kernelILi256EDF16_DF16_PKPKDF16_PKPDF16_EviT1_lT2_llT3_lli.has_indirect_call, 0
	.section	.AMDGPU.csdata,"",@progbits
; Kernel info:
; codeLenInByte = 356
; TotalNumSgprs: 20
; NumVgprs: 10
; ScratchSize: 0
; MemoryBound: 0
; FloatMode: 240
; IeeeMode: 1
; LDSByteSize: 0 bytes/workgroup (compile time only)
; SGPRBlocks: 2
; VGPRBlocks: 2
; NumSGPRsForWavesPerEU: 20
; NumVGPRsForWavesPerEU: 10
; Occupancy: 10
; WaveLimiterHint : 1
; COMPUTE_PGM_RSRC2:SCRATCH_EN: 0
; COMPUTE_PGM_RSRC2:USER_SGPR: 6
; COMPUTE_PGM_RSRC2:TRAP_HANDLER: 0
; COMPUTE_PGM_RSRC2:TGID_X_EN: 1
; COMPUTE_PGM_RSRC2:TGID_Y_EN: 0
; COMPUTE_PGM_RSRC2:TGID_Z_EN: 1
; COMPUTE_PGM_RSRC2:TIDIG_COMP_CNT: 0
	.section	.text._ZL27rocblas_axpy_kernel_batchedIiLi128ELi8EDF16_PKDF16_PKS1_PKPDF16_EviT3_lT4_lT_lT5_lS9_li,"axG",@progbits,_ZL27rocblas_axpy_kernel_batchedIiLi128ELi8EDF16_PKDF16_PKS1_PKPDF16_EviT3_lT4_lT_lT5_lS9_li,comdat
	.globl	_ZL27rocblas_axpy_kernel_batchedIiLi128ELi8EDF16_PKDF16_PKS1_PKPDF16_EviT3_lT4_lT_lT5_lS9_li ; -- Begin function _ZL27rocblas_axpy_kernel_batchedIiLi128ELi8EDF16_PKDF16_PKS1_PKPDF16_EviT3_lT4_lT_lT5_lS9_li
	.p2align	8
	.type	_ZL27rocblas_axpy_kernel_batchedIiLi128ELi8EDF16_PKDF16_PKS1_PKPDF16_EviT3_lT4_lT_lT5_lS9_li,@function
_ZL27rocblas_axpy_kernel_batchedIiLi128ELi8EDF16_PKDF16_PKS1_PKPDF16_EviT3_lT4_lT_lT5_lS9_li: ; @_ZL27rocblas_axpy_kernel_batchedIiLi128ELi8EDF16_PKDF16_PKS1_PKPDF16_EviT3_lT4_lT_lT5_lS9_li
; %bb.0:
	s_load_dword s0, s[4:5], 0x0
	v_lshl_add_u32 v6, s6, 7, v0
	v_mov_b32_e32 v7, 0
	s_waitcnt lgkmcnt(0)
	s_ashr_i32 s1, s0, 31
	v_cmp_gt_i64_e32 vcc, s[0:1], v[6:7]
	s_and_saveexec_b64 s[0:1], vcc
	s_cbranch_execz .LBB48_13
; %bb.1:
	s_load_dword s16, s[4:5], 0x28
	s_load_dwordx8 s[8:15], s[4:5], 0x8
	s_load_dwordx4 s[0:3], s[4:5], 0x38
	s_load_dword s17, s[4:5], 0x48
	s_load_dword s6, s[4:5], 0x58
	s_waitcnt lgkmcnt(0)
	v_mad_u64_u32 v[2:3], s[4:5], s16, v6, 0
	s_ashr_i32 s18, s16, 31
	v_mad_u64_u32 v[4:5], s[4:5], s17, v6, 0
	v_mov_b32_e32 v0, v3
	s_ashr_i32 s16, s17, 31
	v_mad_u64_u32 v[7:8], s[4:5], s18, v6, v[0:1]
	v_mov_b32_e32 v0, v5
	v_mad_u64_u32 v[5:6], s[4:5], s16, v6, v[0:1]
	v_lshlrev_b32_e32 v0, 2, v1
	v_lshl_add_u32 v0, s7, 5, v0
	v_mov_b32_e32 v3, v7
	v_cmp_gt_u32_e32 vcc, s6, v0
	s_and_saveexec_b64 s[4:5], vcc
	s_cbranch_execz .LBB48_4
; %bb.2:
	v_mad_u64_u32 v[6:7], s[16:17], s10, v0, 0
	v_mov_b32_e32 v1, v7
	v_mad_u64_u32 v[7:8], s[16:17], s11, v0, v[1:2]
	v_mov_b32_e32 v1, s9
	v_lshlrev_b64 v[6:7], 1, v[6:7]
	v_add_co_u32_e32 v6, vcc, s8, v6
	v_addc_co_u32_e32 v7, vcc, v1, v7, vcc
	global_load_ushort v6, v[6:7], off
	s_waitcnt vmcnt(0)
	v_cmp_neq_f16_e32 vcc, 0, v6
	s_and_b64 exec, exec, vcc
	s_cbranch_execz .LBB48_4
; %bb.3:
	v_mov_b32_e32 v1, 0
	v_lshlrev_b64 v[7:8], 3, v[0:1]
	v_mov_b32_e32 v1, s13
	v_add_co_u32_e32 v9, vcc, s12, v7
	v_addc_co_u32_e32 v10, vcc, v1, v8, vcc
	global_load_dwordx2 v[9:10], v[9:10], off
	v_mov_b32_e32 v1, s1
	v_add_co_u32_e32 v7, vcc, s0, v7
	v_addc_co_u32_e32 v8, vcc, v1, v8, vcc
	global_load_dwordx2 v[7:8], v[7:8], off
	s_lshl_b64 s[16:17], s[14:15], 1
	v_mov_b32_e32 v1, s17
	s_lshl_b64 s[18:19], s[2:3], 1
	v_lshlrev_b64 v[11:12], 1, v[2:3]
	v_mov_b32_e32 v15, s19
	v_lshlrev_b64 v[13:14], 1, v[4:5]
	s_waitcnt vmcnt(1)
	v_add_co_u32_e32 v9, vcc, s16, v9
	v_addc_co_u32_e32 v1, vcc, v10, v1, vcc
	s_waitcnt vmcnt(0)
	v_add_co_u32_e32 v10, vcc, s18, v7
	v_addc_co_u32_e32 v15, vcc, v8, v15, vcc
	v_add_co_u32_e32 v7, vcc, v9, v11
	v_addc_co_u32_e32 v8, vcc, v1, v12, vcc
	;; [unrolled: 2-line block ×3, first 2 shown]
	flat_load_ushort v1, v[9:10]
	flat_load_ushort v11, v[7:8]
	s_waitcnt vmcnt(0) lgkmcnt(0)
	v_fma_f16 v1, v6, v11, v1
	flat_store_short v[9:10], v1
.LBB48_4:
	s_or_b64 exec, exec, s[4:5]
	v_or_b32_e32 v1, 1, v0
	v_cmp_gt_u32_e32 vcc, s6, v1
	s_and_saveexec_b64 s[4:5], vcc
	s_cbranch_execz .LBB48_7
; %bb.5:
	v_mad_u64_u32 v[6:7], s[16:17], s10, v1, 0
	v_mad_u64_u32 v[7:8], s[16:17], s11, v1, v[7:8]
	v_mov_b32_e32 v1, s9
	v_lshlrev_b64 v[6:7], 1, v[6:7]
	v_add_co_u32_e32 v6, vcc, s8, v6
	v_addc_co_u32_e32 v7, vcc, v1, v7, vcc
	global_load_ushort v6, v[6:7], off
	s_waitcnt vmcnt(0)
	v_cmp_neq_f16_e32 vcc, 0, v6
	s_and_b64 exec, exec, vcc
	s_cbranch_execz .LBB48_7
; %bb.6:
	v_mov_b32_e32 v1, 0
	v_lshlrev_b64 v[7:8], 3, v[0:1]
	v_mov_b32_e32 v1, s13
	v_add_co_u32_e32 v9, vcc, s12, v7
	v_addc_co_u32_e32 v10, vcc, v1, v8, vcc
	global_load_dwordx2 v[9:10], v[9:10], off offset:8
	v_mov_b32_e32 v1, s1
	v_add_co_u32_e32 v7, vcc, s0, v7
	v_addc_co_u32_e32 v8, vcc, v1, v8, vcc
	global_load_dwordx2 v[7:8], v[7:8], off offset:8
	s_lshl_b64 s[16:17], s[14:15], 1
	v_mov_b32_e32 v1, s17
	s_lshl_b64 s[18:19], s[2:3], 1
	v_lshlrev_b64 v[11:12], 1, v[2:3]
	v_mov_b32_e32 v15, s19
	v_lshlrev_b64 v[13:14], 1, v[4:5]
	s_waitcnt vmcnt(0)
	v_add_co_u32_e32 v9, vcc, s16, v9
	v_addc_co_u32_e32 v1, vcc, v10, v1, vcc
	v_add_co_u32_e32 v10, vcc, s18, v7
	v_addc_co_u32_e32 v15, vcc, v8, v15, vcc
	;; [unrolled: 2-line block ×4, first 2 shown]
	flat_load_ushort v1, v[9:10]
	flat_load_ushort v11, v[7:8]
	s_waitcnt vmcnt(0) lgkmcnt(0)
	v_fma_f16 v1, v6, v11, v1
	flat_store_short v[9:10], v1
.LBB48_7:
	s_or_b64 exec, exec, s[4:5]
	v_or_b32_e32 v1, 2, v0
	v_cmp_gt_u32_e32 vcc, s6, v1
	s_and_saveexec_b64 s[4:5], vcc
	s_cbranch_execz .LBB48_10
; %bb.8:
	v_mad_u64_u32 v[6:7], s[16:17], s10, v1, 0
	v_mad_u64_u32 v[7:8], s[16:17], s11, v1, v[7:8]
	v_mov_b32_e32 v1, s9
	v_lshlrev_b64 v[6:7], 1, v[6:7]
	v_add_co_u32_e32 v6, vcc, s8, v6
	v_addc_co_u32_e32 v7, vcc, v1, v7, vcc
	global_load_ushort v6, v[6:7], off
	s_waitcnt vmcnt(0)
	v_cmp_neq_f16_e32 vcc, 0, v6
	s_and_b64 exec, exec, vcc
	s_cbranch_execz .LBB48_10
; %bb.9:
	v_mov_b32_e32 v1, 0
	v_lshlrev_b64 v[7:8], 3, v[0:1]
	v_mov_b32_e32 v1, s13
	v_add_co_u32_e32 v9, vcc, s12, v7
	v_addc_co_u32_e32 v10, vcc, v1, v8, vcc
	global_load_dwordx2 v[9:10], v[9:10], off offset:16
	v_mov_b32_e32 v1, s1
	v_add_co_u32_e32 v7, vcc, s0, v7
	v_addc_co_u32_e32 v8, vcc, v1, v8, vcc
	global_load_dwordx2 v[7:8], v[7:8], off offset:16
	s_lshl_b64 s[16:17], s[14:15], 1
	v_mov_b32_e32 v1, s17
	s_lshl_b64 s[18:19], s[2:3], 1
	v_lshlrev_b64 v[11:12], 1, v[2:3]
	v_mov_b32_e32 v15, s19
	v_lshlrev_b64 v[13:14], 1, v[4:5]
	s_waitcnt vmcnt(0)
	v_add_co_u32_e32 v9, vcc, s16, v9
	v_addc_co_u32_e32 v1, vcc, v10, v1, vcc
	v_add_co_u32_e32 v10, vcc, s18, v7
	v_addc_co_u32_e32 v15, vcc, v8, v15, vcc
	;; [unrolled: 2-line block ×4, first 2 shown]
	flat_load_ushort v1, v[9:10]
	flat_load_ushort v11, v[7:8]
	s_waitcnt vmcnt(0) lgkmcnt(0)
	v_fma_f16 v1, v6, v11, v1
	flat_store_short v[9:10], v1
.LBB48_10:
	s_or_b64 exec, exec, s[4:5]
	v_or_b32_e32 v1, 3, v0
	v_cmp_gt_u32_e32 vcc, s6, v1
	s_and_b64 exec, exec, vcc
	s_cbranch_execz .LBB48_13
; %bb.11:
	v_mad_u64_u32 v[6:7], s[4:5], s10, v1, 0
	v_mad_u64_u32 v[7:8], s[4:5], s11, v1, v[7:8]
	v_mov_b32_e32 v1, s9
	v_lshlrev_b64 v[6:7], 1, v[6:7]
	v_add_co_u32_e32 v6, vcc, s8, v6
	v_addc_co_u32_e32 v7, vcc, v1, v7, vcc
	global_load_ushort v6, v[6:7], off
	s_waitcnt vmcnt(0)
	v_cmp_neq_f16_e32 vcc, 0, v6
	s_and_b64 exec, exec, vcc
	s_cbranch_execz .LBB48_13
; %bb.12:
	v_mov_b32_e32 v1, 0
	v_lshlrev_b64 v[0:1], 3, v[0:1]
	v_mov_b32_e32 v8, s13
	v_add_co_u32_e32 v7, vcc, s12, v0
	v_addc_co_u32_e32 v8, vcc, v8, v1, vcc
	global_load_dwordx2 v[7:8], v[7:8], off offset:24
	v_mov_b32_e32 v9, s1
	v_add_co_u32_e32 v0, vcc, s0, v0
	v_addc_co_u32_e32 v1, vcc, v9, v1, vcc
	global_load_dwordx2 v[0:1], v[0:1], off offset:24
	s_lshl_b64 s[0:1], s[14:15], 1
	v_mov_b32_e32 v9, s1
	s_lshl_b64 s[2:3], s[2:3], 1
	v_lshlrev_b64 v[2:3], 1, v[2:3]
	v_mov_b32_e32 v10, s3
	v_lshlrev_b64 v[4:5], 1, v[4:5]
	s_waitcnt vmcnt(0)
	v_add_co_u32_e32 v7, vcc, s0, v7
	v_addc_co_u32_e32 v8, vcc, v8, v9, vcc
	v_add_co_u32_e32 v9, vcc, s2, v0
	v_addc_co_u32_e32 v10, vcc, v1, v10, vcc
	;; [unrolled: 2-line block ×4, first 2 shown]
	flat_load_ushort v4, v[2:3]
	flat_load_ushort v5, v[0:1]
	s_waitcnt vmcnt(0) lgkmcnt(0)
	v_fma_f16 v0, v6, v5, v4
	flat_store_short v[2:3], v0
.LBB48_13:
	s_endpgm
	.section	.rodata,"a",@progbits
	.p2align	6, 0x0
	.amdhsa_kernel _ZL27rocblas_axpy_kernel_batchedIiLi128ELi8EDF16_PKDF16_PKS1_PKPDF16_EviT3_lT4_lT_lT5_lS9_li
		.amdhsa_group_segment_fixed_size 0
		.amdhsa_private_segment_fixed_size 0
		.amdhsa_kernarg_size 92
		.amdhsa_user_sgpr_count 6
		.amdhsa_user_sgpr_private_segment_buffer 1
		.amdhsa_user_sgpr_dispatch_ptr 0
		.amdhsa_user_sgpr_queue_ptr 0
		.amdhsa_user_sgpr_kernarg_segment_ptr 1
		.amdhsa_user_sgpr_dispatch_id 0
		.amdhsa_user_sgpr_flat_scratch_init 0
		.amdhsa_user_sgpr_private_segment_size 0
		.amdhsa_uses_dynamic_stack 0
		.amdhsa_system_sgpr_private_segment_wavefront_offset 0
		.amdhsa_system_sgpr_workgroup_id_x 1
		.amdhsa_system_sgpr_workgroup_id_y 0
		.amdhsa_system_sgpr_workgroup_id_z 1
		.amdhsa_system_sgpr_workgroup_info 0
		.amdhsa_system_vgpr_workitem_id 1
		.amdhsa_next_free_vgpr 16
		.amdhsa_next_free_sgpr 20
		.amdhsa_reserve_vcc 1
		.amdhsa_reserve_flat_scratch 0
		.amdhsa_float_round_mode_32 0
		.amdhsa_float_round_mode_16_64 0
		.amdhsa_float_denorm_mode_32 3
		.amdhsa_float_denorm_mode_16_64 3
		.amdhsa_dx10_clamp 1
		.amdhsa_ieee_mode 1
		.amdhsa_fp16_overflow 0
		.amdhsa_exception_fp_ieee_invalid_op 0
		.amdhsa_exception_fp_denorm_src 0
		.amdhsa_exception_fp_ieee_div_zero 0
		.amdhsa_exception_fp_ieee_overflow 0
		.amdhsa_exception_fp_ieee_underflow 0
		.amdhsa_exception_fp_ieee_inexact 0
		.amdhsa_exception_int_div_zero 0
	.end_amdhsa_kernel
	.section	.text._ZL27rocblas_axpy_kernel_batchedIiLi128ELi8EDF16_PKDF16_PKS1_PKPDF16_EviT3_lT4_lT_lT5_lS9_li,"axG",@progbits,_ZL27rocblas_axpy_kernel_batchedIiLi128ELi8EDF16_PKDF16_PKS1_PKPDF16_EviT3_lT4_lT_lT5_lS9_li,comdat
.Lfunc_end48:
	.size	_ZL27rocblas_axpy_kernel_batchedIiLi128ELi8EDF16_PKDF16_PKS1_PKPDF16_EviT3_lT4_lT_lT5_lS9_li, .Lfunc_end48-_ZL27rocblas_axpy_kernel_batchedIiLi128ELi8EDF16_PKDF16_PKS1_PKPDF16_EviT3_lT4_lT_lT5_lS9_li
                                        ; -- End function
	.set _ZL27rocblas_axpy_kernel_batchedIiLi128ELi8EDF16_PKDF16_PKS1_PKPDF16_EviT3_lT4_lT_lT5_lS9_li.num_vgpr, 16
	.set _ZL27rocblas_axpy_kernel_batchedIiLi128ELi8EDF16_PKDF16_PKS1_PKPDF16_EviT3_lT4_lT_lT5_lS9_li.num_agpr, 0
	.set _ZL27rocblas_axpy_kernel_batchedIiLi128ELi8EDF16_PKDF16_PKS1_PKPDF16_EviT3_lT4_lT_lT5_lS9_li.numbered_sgpr, 20
	.set _ZL27rocblas_axpy_kernel_batchedIiLi128ELi8EDF16_PKDF16_PKS1_PKPDF16_EviT3_lT4_lT_lT5_lS9_li.num_named_barrier, 0
	.set _ZL27rocblas_axpy_kernel_batchedIiLi128ELi8EDF16_PKDF16_PKS1_PKPDF16_EviT3_lT4_lT_lT5_lS9_li.private_seg_size, 0
	.set _ZL27rocblas_axpy_kernel_batchedIiLi128ELi8EDF16_PKDF16_PKS1_PKPDF16_EviT3_lT4_lT_lT5_lS9_li.uses_vcc, 1
	.set _ZL27rocblas_axpy_kernel_batchedIiLi128ELi8EDF16_PKDF16_PKS1_PKPDF16_EviT3_lT4_lT_lT5_lS9_li.uses_flat_scratch, 0
	.set _ZL27rocblas_axpy_kernel_batchedIiLi128ELi8EDF16_PKDF16_PKS1_PKPDF16_EviT3_lT4_lT_lT5_lS9_li.has_dyn_sized_stack, 0
	.set _ZL27rocblas_axpy_kernel_batchedIiLi128ELi8EDF16_PKDF16_PKS1_PKPDF16_EviT3_lT4_lT_lT5_lS9_li.has_recursion, 0
	.set _ZL27rocblas_axpy_kernel_batchedIiLi128ELi8EDF16_PKDF16_PKS1_PKPDF16_EviT3_lT4_lT_lT5_lS9_li.has_indirect_call, 0
	.section	.AMDGPU.csdata,"",@progbits
; Kernel info:
; codeLenInByte = 1096
; TotalNumSgprs: 24
; NumVgprs: 16
; ScratchSize: 0
; MemoryBound: 0
; FloatMode: 240
; IeeeMode: 1
; LDSByteSize: 0 bytes/workgroup (compile time only)
; SGPRBlocks: 2
; VGPRBlocks: 3
; NumSGPRsForWavesPerEU: 24
; NumVGPRsForWavesPerEU: 16
; Occupancy: 10
; WaveLimiterHint : 1
; COMPUTE_PGM_RSRC2:SCRATCH_EN: 0
; COMPUTE_PGM_RSRC2:USER_SGPR: 6
; COMPUTE_PGM_RSRC2:TRAP_HANDLER: 0
; COMPUTE_PGM_RSRC2:TGID_X_EN: 1
; COMPUTE_PGM_RSRC2:TGID_Y_EN: 0
; COMPUTE_PGM_RSRC2:TGID_Z_EN: 1
; COMPUTE_PGM_RSRC2:TIDIG_COMP_CNT: 1
	.section	.text._ZL27rocblas_axpy_kernel_batchedIiLi128ELi8EDF16_DF16_PKPKDF16_PKPDF16_EviT3_lT4_lT_lT5_lS9_li,"axG",@progbits,_ZL27rocblas_axpy_kernel_batchedIiLi128ELi8EDF16_DF16_PKPKDF16_PKPDF16_EviT3_lT4_lT_lT5_lS9_li,comdat
	.globl	_ZL27rocblas_axpy_kernel_batchedIiLi128ELi8EDF16_DF16_PKPKDF16_PKPDF16_EviT3_lT4_lT_lT5_lS9_li ; -- Begin function _ZL27rocblas_axpy_kernel_batchedIiLi128ELi8EDF16_DF16_PKPKDF16_PKPDF16_EviT3_lT4_lT_lT5_lS9_li
	.p2align	8
	.type	_ZL27rocblas_axpy_kernel_batchedIiLi128ELi8EDF16_DF16_PKPKDF16_PKPDF16_EviT3_lT4_lT_lT5_lS9_li,@function
_ZL27rocblas_axpy_kernel_batchedIiLi128ELi8EDF16_DF16_PKPKDF16_PKPDF16_EviT3_lT4_lT_lT5_lS9_li: ; @_ZL27rocblas_axpy_kernel_batchedIiLi128ELi8EDF16_DF16_PKPKDF16_PKPDF16_EviT3_lT4_lT_lT5_lS9_li
; %bb.0:
	s_load_dwordx2 s[12:13], s[4:5], 0x0
	v_lshl_add_u32 v2, s6, 7, v0
	v_mov_b32_e32 v3, 0
	s_waitcnt lgkmcnt(0)
	s_ashr_i32 s1, s12, 31
	s_mov_b32 s0, s12
	v_cmp_gt_i64_e32 vcc, s[0:1], v[2:3]
	s_and_saveexec_b64 s[0:1], vcc
	s_cbranch_execz .LBB49_9
; %bb.1:
	s_load_dword s6, s[4:5], 0x20
	s_load_dwordx4 s[0:3], s[4:5], 0x10
	s_load_dwordx4 s[8:11], s[4:5], 0x30
	s_load_dword s14, s[4:5], 0x40
	s_load_dword s12, s[4:5], 0x50
	s_waitcnt lgkmcnt(0)
	v_mad_u64_u32 v[5:6], s[4:5], s6, v2, 0
	s_ashr_i32 s15, s6, 31
	v_mad_u64_u32 v[7:8], s[4:5], s14, v2, 0
	v_mov_b32_e32 v0, v6
	s_ashr_i32 s6, s14, 31
	v_mad_u64_u32 v[3:4], s[4:5], s15, v2, v[0:1]
	v_mov_b32_e32 v0, v8
	v_mad_u64_u32 v[8:9], s[4:5], s6, v2, v[0:1]
	v_lshlrev_b32_e32 v0, 2, v1
	v_lshl_add_u32 v4, s7, 5, v0
	v_mov_b32_e32 v6, v3
	v_cmp_neq_f16_e64 s[4:5], s13, 0
	v_cmp_gt_u32_e32 vcc, s12, v4
	v_lshlrev_b64 v[2:3], 1, v[5:6]
	v_lshlrev_b64 v[0:1], 1, v[7:8]
	s_and_b64 s[14:15], s[4:5], vcc
	s_and_saveexec_b64 s[6:7], s[14:15]
	s_cbranch_execz .LBB49_3
; %bb.2:
	v_mov_b32_e32 v5, 0
	v_lshlrev_b64 v[5:6], 3, v[4:5]
	v_mov_b32_e32 v8, s1
	v_add_co_u32_e32 v7, vcc, s0, v5
	v_addc_co_u32_e32 v8, vcc, v8, v6, vcc
	global_load_dwordx2 v[7:8], v[7:8], off
	v_mov_b32_e32 v9, s9
	v_add_co_u32_e32 v5, vcc, s8, v5
	v_addc_co_u32_e32 v6, vcc, v9, v6, vcc
	global_load_dwordx2 v[5:6], v[5:6], off
	s_lshl_b64 s[14:15], s[2:3], 1
	v_mov_b32_e32 v9, s15
	s_lshl_b64 s[16:17], s[10:11], 1
	v_mov_b32_e32 v10, s17
	s_waitcnt vmcnt(1)
	v_add_co_u32_e32 v7, vcc, s14, v7
	v_addc_co_u32_e32 v8, vcc, v8, v9, vcc
	s_waitcnt vmcnt(0)
	v_add_co_u32_e32 v9, vcc, s16, v5
	v_addc_co_u32_e32 v10, vcc, v6, v10, vcc
	v_add_co_u32_e32 v5, vcc, v7, v2
	v_addc_co_u32_e32 v6, vcc, v8, v3, vcc
	;; [unrolled: 2-line block ×3, first 2 shown]
	flat_load_ushort v9, v[7:8]
	flat_load_ushort v10, v[5:6]
	s_waitcnt vmcnt(0) lgkmcnt(0)
	v_fma_f16 v5, s13, v10, v9
	flat_store_short v[7:8], v5
.LBB49_3:
	s_or_b64 exec, exec, s[6:7]
	v_or_b32_e32 v5, 1, v4
	v_cmp_gt_u32_e32 vcc, s12, v5
	s_and_b64 s[14:15], s[4:5], vcc
	s_and_saveexec_b64 s[6:7], s[14:15]
	s_cbranch_execz .LBB49_5
; %bb.4:
	v_mov_b32_e32 v5, 0
	v_lshlrev_b64 v[5:6], 3, v[4:5]
	v_mov_b32_e32 v8, s1
	v_add_co_u32_e32 v7, vcc, s0, v5
	v_addc_co_u32_e32 v8, vcc, v8, v6, vcc
	global_load_dwordx2 v[7:8], v[7:8], off offset:8
	v_mov_b32_e32 v9, s9
	v_add_co_u32_e32 v5, vcc, s8, v5
	v_addc_co_u32_e32 v6, vcc, v9, v6, vcc
	global_load_dwordx2 v[5:6], v[5:6], off offset:8
	s_lshl_b64 s[14:15], s[2:3], 1
	v_mov_b32_e32 v9, s15
	s_lshl_b64 s[16:17], s[10:11], 1
	v_mov_b32_e32 v10, s17
	s_waitcnt vmcnt(0)
	v_add_co_u32_e32 v7, vcc, s14, v7
	v_addc_co_u32_e32 v8, vcc, v8, v9, vcc
	v_add_co_u32_e32 v9, vcc, s16, v5
	v_addc_co_u32_e32 v10, vcc, v6, v10, vcc
	;; [unrolled: 2-line block ×4, first 2 shown]
	flat_load_ushort v9, v[7:8]
	flat_load_ushort v10, v[5:6]
	s_waitcnt vmcnt(0) lgkmcnt(0)
	v_fma_f16 v5, s13, v10, v9
	flat_store_short v[7:8], v5
.LBB49_5:
	s_or_b64 exec, exec, s[6:7]
	v_or_b32_e32 v5, 2, v4
	v_cmp_gt_u32_e32 vcc, s12, v5
	s_and_b64 s[14:15], s[4:5], vcc
	s_and_saveexec_b64 s[6:7], s[14:15]
	s_cbranch_execz .LBB49_7
; %bb.6:
	v_mov_b32_e32 v5, 0
	v_lshlrev_b64 v[5:6], 3, v[4:5]
	v_mov_b32_e32 v8, s1
	v_add_co_u32_e32 v7, vcc, s0, v5
	v_addc_co_u32_e32 v8, vcc, v8, v6, vcc
	global_load_dwordx2 v[7:8], v[7:8], off offset:16
	v_mov_b32_e32 v9, s9
	v_add_co_u32_e32 v5, vcc, s8, v5
	v_addc_co_u32_e32 v6, vcc, v9, v6, vcc
	global_load_dwordx2 v[5:6], v[5:6], off offset:16
	s_lshl_b64 s[14:15], s[2:3], 1
	v_mov_b32_e32 v9, s15
	s_lshl_b64 s[16:17], s[10:11], 1
	v_mov_b32_e32 v10, s17
	s_waitcnt vmcnt(0)
	v_add_co_u32_e32 v7, vcc, s14, v7
	v_addc_co_u32_e32 v8, vcc, v8, v9, vcc
	v_add_co_u32_e32 v9, vcc, s16, v5
	v_addc_co_u32_e32 v10, vcc, v6, v10, vcc
	;; [unrolled: 2-line block ×4, first 2 shown]
	flat_load_ushort v9, v[7:8]
	flat_load_ushort v10, v[5:6]
	s_waitcnt vmcnt(0) lgkmcnt(0)
	v_fma_f16 v5, s13, v10, v9
	flat_store_short v[7:8], v5
.LBB49_7:
	s_or_b64 exec, exec, s[6:7]
	v_or_b32_e32 v5, 3, v4
	v_cmp_gt_u32_e32 vcc, s12, v5
	s_and_b64 s[4:5], s[4:5], vcc
	s_and_b64 exec, exec, s[4:5]
	s_cbranch_execz .LBB49_9
; %bb.8:
	v_mov_b32_e32 v5, 0
	v_lshlrev_b64 v[4:5], 3, v[4:5]
	v_mov_b32_e32 v7, s1
	v_add_co_u32_e32 v6, vcc, s0, v4
	v_addc_co_u32_e32 v7, vcc, v7, v5, vcc
	global_load_dwordx2 v[6:7], v[6:7], off offset:24
	v_mov_b32_e32 v8, s9
	v_add_co_u32_e32 v4, vcc, s8, v4
	v_addc_co_u32_e32 v5, vcc, v8, v5, vcc
	global_load_dwordx2 v[4:5], v[4:5], off offset:24
	s_lshl_b64 s[0:1], s[2:3], 1
	v_mov_b32_e32 v8, s1
	s_lshl_b64 s[2:3], s[10:11], 1
	v_mov_b32_e32 v9, s3
	s_waitcnt vmcnt(0)
	v_add_co_u32_e32 v6, vcc, s0, v6
	v_addc_co_u32_e32 v7, vcc, v7, v8, vcc
	v_add_co_u32_e32 v4, vcc, s2, v4
	v_addc_co_u32_e32 v5, vcc, v5, v9, vcc
	;; [unrolled: 2-line block ×4, first 2 shown]
	flat_load_ushort v4, v[0:1]
	flat_load_ushort v5, v[2:3]
	s_waitcnt vmcnt(0) lgkmcnt(0)
	v_fma_f16 v2, s13, v5, v4
	flat_store_short v[0:1], v2
.LBB49_9:
	s_endpgm
	.section	.rodata,"a",@progbits
	.p2align	6, 0x0
	.amdhsa_kernel _ZL27rocblas_axpy_kernel_batchedIiLi128ELi8EDF16_DF16_PKPKDF16_PKPDF16_EviT3_lT4_lT_lT5_lS9_li
		.amdhsa_group_segment_fixed_size 0
		.amdhsa_private_segment_fixed_size 0
		.amdhsa_kernarg_size 84
		.amdhsa_user_sgpr_count 6
		.amdhsa_user_sgpr_private_segment_buffer 1
		.amdhsa_user_sgpr_dispatch_ptr 0
		.amdhsa_user_sgpr_queue_ptr 0
		.amdhsa_user_sgpr_kernarg_segment_ptr 1
		.amdhsa_user_sgpr_dispatch_id 0
		.amdhsa_user_sgpr_flat_scratch_init 0
		.amdhsa_user_sgpr_private_segment_size 0
		.amdhsa_uses_dynamic_stack 0
		.amdhsa_system_sgpr_private_segment_wavefront_offset 0
		.amdhsa_system_sgpr_workgroup_id_x 1
		.amdhsa_system_sgpr_workgroup_id_y 0
		.amdhsa_system_sgpr_workgroup_id_z 1
		.amdhsa_system_sgpr_workgroup_info 0
		.amdhsa_system_vgpr_workitem_id 1
		.amdhsa_next_free_vgpr 11
		.amdhsa_next_free_sgpr 18
		.amdhsa_reserve_vcc 1
		.amdhsa_reserve_flat_scratch 0
		.amdhsa_float_round_mode_32 0
		.amdhsa_float_round_mode_16_64 0
		.amdhsa_float_denorm_mode_32 3
		.amdhsa_float_denorm_mode_16_64 3
		.amdhsa_dx10_clamp 1
		.amdhsa_ieee_mode 1
		.amdhsa_fp16_overflow 0
		.amdhsa_exception_fp_ieee_invalid_op 0
		.amdhsa_exception_fp_denorm_src 0
		.amdhsa_exception_fp_ieee_div_zero 0
		.amdhsa_exception_fp_ieee_overflow 0
		.amdhsa_exception_fp_ieee_underflow 0
		.amdhsa_exception_fp_ieee_inexact 0
		.amdhsa_exception_int_div_zero 0
	.end_amdhsa_kernel
	.section	.text._ZL27rocblas_axpy_kernel_batchedIiLi128ELi8EDF16_DF16_PKPKDF16_PKPDF16_EviT3_lT4_lT_lT5_lS9_li,"axG",@progbits,_ZL27rocblas_axpy_kernel_batchedIiLi128ELi8EDF16_DF16_PKPKDF16_PKPDF16_EviT3_lT4_lT_lT5_lS9_li,comdat
.Lfunc_end49:
	.size	_ZL27rocblas_axpy_kernel_batchedIiLi128ELi8EDF16_DF16_PKPKDF16_PKPDF16_EviT3_lT4_lT_lT5_lS9_li, .Lfunc_end49-_ZL27rocblas_axpy_kernel_batchedIiLi128ELi8EDF16_DF16_PKPKDF16_PKPDF16_EviT3_lT4_lT_lT5_lS9_li
                                        ; -- End function
	.set _ZL27rocblas_axpy_kernel_batchedIiLi128ELi8EDF16_DF16_PKPKDF16_PKPDF16_EviT3_lT4_lT_lT5_lS9_li.num_vgpr, 11
	.set _ZL27rocblas_axpy_kernel_batchedIiLi128ELi8EDF16_DF16_PKPKDF16_PKPDF16_EviT3_lT4_lT_lT5_lS9_li.num_agpr, 0
	.set _ZL27rocblas_axpy_kernel_batchedIiLi128ELi8EDF16_DF16_PKPKDF16_PKPDF16_EviT3_lT4_lT_lT5_lS9_li.numbered_sgpr, 18
	.set _ZL27rocblas_axpy_kernel_batchedIiLi128ELi8EDF16_DF16_PKPKDF16_PKPDF16_EviT3_lT4_lT_lT5_lS9_li.num_named_barrier, 0
	.set _ZL27rocblas_axpy_kernel_batchedIiLi128ELi8EDF16_DF16_PKPKDF16_PKPDF16_EviT3_lT4_lT_lT5_lS9_li.private_seg_size, 0
	.set _ZL27rocblas_axpy_kernel_batchedIiLi128ELi8EDF16_DF16_PKPKDF16_PKPDF16_EviT3_lT4_lT_lT5_lS9_li.uses_vcc, 1
	.set _ZL27rocblas_axpy_kernel_batchedIiLi128ELi8EDF16_DF16_PKPKDF16_PKPDF16_EviT3_lT4_lT_lT5_lS9_li.uses_flat_scratch, 0
	.set _ZL27rocblas_axpy_kernel_batchedIiLi128ELi8EDF16_DF16_PKPKDF16_PKPDF16_EviT3_lT4_lT_lT5_lS9_li.has_dyn_sized_stack, 0
	.set _ZL27rocblas_axpy_kernel_batchedIiLi128ELi8EDF16_DF16_PKPKDF16_PKPDF16_EviT3_lT4_lT_lT5_lS9_li.has_recursion, 0
	.set _ZL27rocblas_axpy_kernel_batchedIiLi128ELi8EDF16_DF16_PKPKDF16_PKPDF16_EviT3_lT4_lT_lT5_lS9_li.has_indirect_call, 0
	.section	.AMDGPU.csdata,"",@progbits
; Kernel info:
; codeLenInByte = 832
; TotalNumSgprs: 22
; NumVgprs: 11
; ScratchSize: 0
; MemoryBound: 0
; FloatMode: 240
; IeeeMode: 1
; LDSByteSize: 0 bytes/workgroup (compile time only)
; SGPRBlocks: 2
; VGPRBlocks: 2
; NumSGPRsForWavesPerEU: 22
; NumVGPRsForWavesPerEU: 11
; Occupancy: 10
; WaveLimiterHint : 1
; COMPUTE_PGM_RSRC2:SCRATCH_EN: 0
; COMPUTE_PGM_RSRC2:USER_SGPR: 6
; COMPUTE_PGM_RSRC2:TRAP_HANDLER: 0
; COMPUTE_PGM_RSRC2:TGID_X_EN: 1
; COMPUTE_PGM_RSRC2:TGID_Y_EN: 0
; COMPUTE_PGM_RSRC2:TGID_Z_EN: 1
; COMPUTE_PGM_RSRC2:TIDIG_COMP_CNT: 1
	.section	.text._ZL19rocblas_axpy_kernelIiLi256EDF16_PKDF16_PKS1_PKPDF16_EviT2_lT3_lT_lT4_lS9_li,"axG",@progbits,_ZL19rocblas_axpy_kernelIiLi256EDF16_PKDF16_PKS1_PKPDF16_EviT2_lT3_lT_lT4_lS9_li,comdat
	.globl	_ZL19rocblas_axpy_kernelIiLi256EDF16_PKDF16_PKS1_PKPDF16_EviT2_lT3_lT_lT4_lS9_li ; -- Begin function _ZL19rocblas_axpy_kernelIiLi256EDF16_PKDF16_PKS1_PKPDF16_EviT2_lT3_lT_lT4_lS9_li
	.p2align	8
	.type	_ZL19rocblas_axpy_kernelIiLi256EDF16_PKDF16_PKS1_PKPDF16_EviT2_lT3_lT_lT4_lS9_li,@function
_ZL19rocblas_axpy_kernelIiLi256EDF16_PKDF16_PKS1_PKPDF16_EviT2_lT3_lT_lT4_lS9_li: ; @_ZL19rocblas_axpy_kernelIiLi256EDF16_PKDF16_PKS1_PKPDF16_EviT2_lT3_lT_lT4_lS9_li
; %bb.0:
	s_load_dword s0, s[4:5], 0x0
	s_load_dwordx4 s[8:11], s[4:5], 0x8
	s_mov_b32 s2, s7
	v_mov_b32_e32 v1, 0
	v_lshl_or_b32 v0, s6, 8, v0
	s_waitcnt lgkmcnt(0)
	s_ashr_i32 s1, s0, 31
	s_mul_i32 s3, s11, s7
	s_mul_hi_u32 s7, s10, s7
	s_add_i32 s11, s7, s3
	s_mul_i32 s10, s10, s2
	s_lshl_b64 s[10:11], s[10:11], 1
	s_add_u32 s8, s8, s10
	s_addc_u32 s9, s9, s11
	global_load_ushort v2, v1, s[8:9]
	v_cmp_gt_i64_e32 vcc, s[0:1], v[0:1]
	s_mov_b32 s3, 0
	s_waitcnt vmcnt(0)
	v_cmp_neq_f16_e64 s[0:1], 0, v2
	s_and_b64 s[0:1], vcc, s[0:1]
	s_and_saveexec_b64 s[6:7], s[0:1]
	s_cbranch_execz .LBB50_2
; %bb.1:
	s_load_dword s12, s[4:5], 0x28
	s_load_dwordx4 s[8:11], s[4:5], 0x18
	s_load_dword s14, s[4:5], 0x48
	s_lshl_b64 s[6:7], s[2:3], 3
	s_waitcnt lgkmcnt(0)
	v_mad_u64_u32 v[3:4], s[0:1], s12, v0, 0
	s_ashr_i32 s0, s12, 31
	s_ashr_i32 s15, s14, 31
	v_mov_b32_e32 v1, v4
	s_add_u32 s8, s8, s6
	v_mad_u64_u32 v[4:5], s[0:1], s0, v0, v[1:2]
	s_addc_u32 s9, s9, s7
	s_load_dwordx2 s[12:13], s[8:9], 0x0
	s_load_dwordx4 s[0:3], s[4:5], 0x38
	s_lshl_b64 s[4:5], s[10:11], 1
	v_mad_u64_u32 v[5:6], s[8:9], s14, v0, 0
	s_waitcnt lgkmcnt(0)
	s_add_u32 s10, s12, s4
	s_addc_u32 s4, s13, s5
	s_add_u32 s0, s0, s6
	v_mov_b32_e32 v1, v6
	s_addc_u32 s1, s1, s7
	v_mov_b32_e32 v7, s4
	v_mad_u64_u32 v[0:1], s[4:5], s15, v0, v[1:2]
	s_load_dwordx2 s[0:1], s[0:1], 0x0
	v_lshlrev_b64 v[3:4], 1, v[3:4]
	v_mov_b32_e32 v6, v0
	s_lshl_b64 s[2:3], s[2:3], 1
	v_add_co_u32_e32 v3, vcc, s10, v3
	s_waitcnt lgkmcnt(0)
	s_add_u32 s0, s0, s2
	v_lshlrev_b64 v[0:1], 1, v[5:6]
	v_addc_co_u32_e32 v4, vcc, v7, v4, vcc
	s_addc_u32 s1, s1, s3
	v_mov_b32_e32 v5, s1
	v_add_co_u32_e32 v0, vcc, s0, v0
	v_addc_co_u32_e32 v1, vcc, v5, v1, vcc
	flat_load_ushort v5, v[0:1]
	flat_load_ushort v6, v[3:4]
	s_waitcnt vmcnt(0) lgkmcnt(0)
	v_fma_f16 v2, v2, v6, v5
	flat_store_short v[0:1], v2
.LBB50_2:
	s_endpgm
	.section	.rodata,"a",@progbits
	.p2align	6, 0x0
	.amdhsa_kernel _ZL19rocblas_axpy_kernelIiLi256EDF16_PKDF16_PKS1_PKPDF16_EviT2_lT3_lT_lT4_lS9_li
		.amdhsa_group_segment_fixed_size 0
		.amdhsa_private_segment_fixed_size 0
		.amdhsa_kernarg_size 92
		.amdhsa_user_sgpr_count 6
		.amdhsa_user_sgpr_private_segment_buffer 1
		.amdhsa_user_sgpr_dispatch_ptr 0
		.amdhsa_user_sgpr_queue_ptr 0
		.amdhsa_user_sgpr_kernarg_segment_ptr 1
		.amdhsa_user_sgpr_dispatch_id 0
		.amdhsa_user_sgpr_flat_scratch_init 0
		.amdhsa_user_sgpr_private_segment_size 0
		.amdhsa_uses_dynamic_stack 0
		.amdhsa_system_sgpr_private_segment_wavefront_offset 0
		.amdhsa_system_sgpr_workgroup_id_x 1
		.amdhsa_system_sgpr_workgroup_id_y 0
		.amdhsa_system_sgpr_workgroup_id_z 1
		.amdhsa_system_sgpr_workgroup_info 0
		.amdhsa_system_vgpr_workitem_id 0
		.amdhsa_next_free_vgpr 8
		.amdhsa_next_free_sgpr 16
		.amdhsa_reserve_vcc 1
		.amdhsa_reserve_flat_scratch 0
		.amdhsa_float_round_mode_32 0
		.amdhsa_float_round_mode_16_64 0
		.amdhsa_float_denorm_mode_32 3
		.amdhsa_float_denorm_mode_16_64 3
		.amdhsa_dx10_clamp 1
		.amdhsa_ieee_mode 1
		.amdhsa_fp16_overflow 0
		.amdhsa_exception_fp_ieee_invalid_op 0
		.amdhsa_exception_fp_denorm_src 0
		.amdhsa_exception_fp_ieee_div_zero 0
		.amdhsa_exception_fp_ieee_overflow 0
		.amdhsa_exception_fp_ieee_underflow 0
		.amdhsa_exception_fp_ieee_inexact 0
		.amdhsa_exception_int_div_zero 0
	.end_amdhsa_kernel
	.section	.text._ZL19rocblas_axpy_kernelIiLi256EDF16_PKDF16_PKS1_PKPDF16_EviT2_lT3_lT_lT4_lS9_li,"axG",@progbits,_ZL19rocblas_axpy_kernelIiLi256EDF16_PKDF16_PKS1_PKPDF16_EviT2_lT3_lT_lT4_lS9_li,comdat
.Lfunc_end50:
	.size	_ZL19rocblas_axpy_kernelIiLi256EDF16_PKDF16_PKS1_PKPDF16_EviT2_lT3_lT_lT4_lS9_li, .Lfunc_end50-_ZL19rocblas_axpy_kernelIiLi256EDF16_PKDF16_PKS1_PKPDF16_EviT2_lT3_lT_lT4_lS9_li
                                        ; -- End function
	.set _ZL19rocblas_axpy_kernelIiLi256EDF16_PKDF16_PKS1_PKPDF16_EviT2_lT3_lT_lT4_lS9_li.num_vgpr, 8
	.set _ZL19rocblas_axpy_kernelIiLi256EDF16_PKDF16_PKS1_PKPDF16_EviT2_lT3_lT_lT4_lS9_li.num_agpr, 0
	.set _ZL19rocblas_axpy_kernelIiLi256EDF16_PKDF16_PKS1_PKPDF16_EviT2_lT3_lT_lT4_lS9_li.numbered_sgpr, 16
	.set _ZL19rocblas_axpy_kernelIiLi256EDF16_PKDF16_PKS1_PKPDF16_EviT2_lT3_lT_lT4_lS9_li.num_named_barrier, 0
	.set _ZL19rocblas_axpy_kernelIiLi256EDF16_PKDF16_PKS1_PKPDF16_EviT2_lT3_lT_lT4_lS9_li.private_seg_size, 0
	.set _ZL19rocblas_axpy_kernelIiLi256EDF16_PKDF16_PKS1_PKPDF16_EviT2_lT3_lT_lT4_lS9_li.uses_vcc, 1
	.set _ZL19rocblas_axpy_kernelIiLi256EDF16_PKDF16_PKS1_PKPDF16_EviT2_lT3_lT_lT4_lS9_li.uses_flat_scratch, 0
	.set _ZL19rocblas_axpy_kernelIiLi256EDF16_PKDF16_PKS1_PKPDF16_EviT2_lT3_lT_lT4_lS9_li.has_dyn_sized_stack, 0
	.set _ZL19rocblas_axpy_kernelIiLi256EDF16_PKDF16_PKS1_PKPDF16_EviT2_lT3_lT_lT4_lS9_li.has_recursion, 0
	.set _ZL19rocblas_axpy_kernelIiLi256EDF16_PKDF16_PKS1_PKPDF16_EviT2_lT3_lT_lT4_lS9_li.has_indirect_call, 0
	.section	.AMDGPU.csdata,"",@progbits
; Kernel info:
; codeLenInByte = 344
; TotalNumSgprs: 20
; NumVgprs: 8
; ScratchSize: 0
; MemoryBound: 0
; FloatMode: 240
; IeeeMode: 1
; LDSByteSize: 0 bytes/workgroup (compile time only)
; SGPRBlocks: 2
; VGPRBlocks: 1
; NumSGPRsForWavesPerEU: 20
; NumVGPRsForWavesPerEU: 8
; Occupancy: 10
; WaveLimiterHint : 1
; COMPUTE_PGM_RSRC2:SCRATCH_EN: 0
; COMPUTE_PGM_RSRC2:USER_SGPR: 6
; COMPUTE_PGM_RSRC2:TRAP_HANDLER: 0
; COMPUTE_PGM_RSRC2:TGID_X_EN: 1
; COMPUTE_PGM_RSRC2:TGID_Y_EN: 0
; COMPUTE_PGM_RSRC2:TGID_Z_EN: 1
; COMPUTE_PGM_RSRC2:TIDIG_COMP_CNT: 0
	.section	.text._ZL19rocblas_axpy_kernelIiLi256EDF16_DF16_PKPKDF16_PKPDF16_EviT2_lT3_lT_lT4_lS9_li,"axG",@progbits,_ZL19rocblas_axpy_kernelIiLi256EDF16_DF16_PKPKDF16_PKPDF16_EviT2_lT3_lT_lT4_lS9_li,comdat
	.globl	_ZL19rocblas_axpy_kernelIiLi256EDF16_DF16_PKPKDF16_PKPDF16_EviT2_lT3_lT_lT4_lS9_li ; -- Begin function _ZL19rocblas_axpy_kernelIiLi256EDF16_DF16_PKPKDF16_PKPDF16_EviT2_lT3_lT_lT4_lS9_li
	.p2align	8
	.type	_ZL19rocblas_axpy_kernelIiLi256EDF16_DF16_PKPKDF16_PKPDF16_EviT2_lT3_lT_lT4_lS9_li,@function
_ZL19rocblas_axpy_kernelIiLi256EDF16_DF16_PKPKDF16_PKPDF16_EviT2_lT3_lT_lT4_lS9_li: ; @_ZL19rocblas_axpy_kernelIiLi256EDF16_DF16_PKPKDF16_PKPDF16_EviT2_lT3_lT_lT4_lS9_li
; %bb.0:
	s_load_dwordx2 s[0:1], s[4:5], 0x0
	s_mov_b32 s2, s7
	v_lshl_or_b32 v0, s6, 8, v0
	v_mov_b32_e32 v1, 0
	s_mov_b32 s3, 0
	s_waitcnt lgkmcnt(0)
	s_ashr_i32 s7, s0, 31
	s_mov_b32 s6, s0
	v_cmp_gt_i64_e32 vcc, s[6:7], v[0:1]
	v_cmp_neq_f16_e64 s[6:7], s1, 0
	s_and_b64 s[6:7], s[6:7], vcc
	s_and_saveexec_b64 s[8:9], s[6:7]
	s_cbranch_execz .LBB51_2
; %bb.1:
	s_load_dword s0, s[4:5], 0x20
	s_load_dwordx4 s[8:11], s[4:5], 0x10
	s_load_dword s16, s[4:5], 0x40
	s_lshl_b64 s[2:3], s[2:3], 3
	s_waitcnt lgkmcnt(0)
	v_mad_u64_u32 v[1:2], s[6:7], s0, v0, 0
	s_ashr_i32 s0, s0, 31
	s_ashr_i32 s17, s16, 31
	v_mad_u64_u32 v[2:3], s[6:7], s0, v0, v[2:3]
	s_add_u32 s6, s8, s2
	s_addc_u32 s7, s9, s3
	s_load_dwordx2 s[8:9], s[6:7], 0x0
	s_load_dwordx4 s[12:15], s[4:5], 0x30
	s_lshl_b64 s[4:5], s[10:11], 1
	v_mad_u64_u32 v[3:4], s[6:7], s16, v0, 0
	s_waitcnt lgkmcnt(0)
	s_add_u32 s0, s8, s4
	s_addc_u32 s4, s9, s5
	s_add_u32 s2, s12, s2
	s_addc_u32 s3, s13, s3
	s_load_dwordx2 s[2:3], s[2:3], 0x0
	v_mov_b32_e32 v6, s4
	v_mad_u64_u32 v[4:5], s[4:5], s17, v0, v[4:5]
	v_lshlrev_b64 v[1:2], 1, v[1:2]
	s_lshl_b64 s[4:5], s[14:15], 1
	v_add_co_u32_e32 v0, vcc, s0, v1
	v_addc_co_u32_e32 v1, vcc, v6, v2, vcc
	s_waitcnt lgkmcnt(0)
	s_add_u32 s0, s2, s4
	v_lshlrev_b64 v[2:3], 1, v[3:4]
	s_addc_u32 s2, s3, s5
	v_mov_b32_e32 v4, s2
	v_add_co_u32_e32 v2, vcc, s0, v2
	v_addc_co_u32_e32 v3, vcc, v4, v3, vcc
	flat_load_ushort v4, v[2:3]
	flat_load_ushort v5, v[0:1]
	s_waitcnt vmcnt(0) lgkmcnt(0)
	v_fma_f16 v0, s1, v5, v4
	flat_store_short v[2:3], v0
.LBB51_2:
	s_endpgm
	.section	.rodata,"a",@progbits
	.p2align	6, 0x0
	.amdhsa_kernel _ZL19rocblas_axpy_kernelIiLi256EDF16_DF16_PKPKDF16_PKPDF16_EviT2_lT3_lT_lT4_lS9_li
		.amdhsa_group_segment_fixed_size 0
		.amdhsa_private_segment_fixed_size 0
		.amdhsa_kernarg_size 84
		.amdhsa_user_sgpr_count 6
		.amdhsa_user_sgpr_private_segment_buffer 1
		.amdhsa_user_sgpr_dispatch_ptr 0
		.amdhsa_user_sgpr_queue_ptr 0
		.amdhsa_user_sgpr_kernarg_segment_ptr 1
		.amdhsa_user_sgpr_dispatch_id 0
		.amdhsa_user_sgpr_flat_scratch_init 0
		.amdhsa_user_sgpr_private_segment_size 0
		.amdhsa_uses_dynamic_stack 0
		.amdhsa_system_sgpr_private_segment_wavefront_offset 0
		.amdhsa_system_sgpr_workgroup_id_x 1
		.amdhsa_system_sgpr_workgroup_id_y 0
		.amdhsa_system_sgpr_workgroup_id_z 1
		.amdhsa_system_sgpr_workgroup_info 0
		.amdhsa_system_vgpr_workitem_id 0
		.amdhsa_next_free_vgpr 7
		.amdhsa_next_free_sgpr 18
		.amdhsa_reserve_vcc 1
		.amdhsa_reserve_flat_scratch 0
		.amdhsa_float_round_mode_32 0
		.amdhsa_float_round_mode_16_64 0
		.amdhsa_float_denorm_mode_32 3
		.amdhsa_float_denorm_mode_16_64 3
		.amdhsa_dx10_clamp 1
		.amdhsa_ieee_mode 1
		.amdhsa_fp16_overflow 0
		.amdhsa_exception_fp_ieee_invalid_op 0
		.amdhsa_exception_fp_denorm_src 0
		.amdhsa_exception_fp_ieee_div_zero 0
		.amdhsa_exception_fp_ieee_overflow 0
		.amdhsa_exception_fp_ieee_underflow 0
		.amdhsa_exception_fp_ieee_inexact 0
		.amdhsa_exception_int_div_zero 0
	.end_amdhsa_kernel
	.section	.text._ZL19rocblas_axpy_kernelIiLi256EDF16_DF16_PKPKDF16_PKPDF16_EviT2_lT3_lT_lT4_lS9_li,"axG",@progbits,_ZL19rocblas_axpy_kernelIiLi256EDF16_DF16_PKPKDF16_PKPDF16_EviT2_lT3_lT_lT4_lS9_li,comdat
.Lfunc_end51:
	.size	_ZL19rocblas_axpy_kernelIiLi256EDF16_DF16_PKPKDF16_PKPDF16_EviT2_lT3_lT_lT4_lS9_li, .Lfunc_end51-_ZL19rocblas_axpy_kernelIiLi256EDF16_DF16_PKPKDF16_PKPDF16_EviT2_lT3_lT_lT4_lS9_li
                                        ; -- End function
	.set _ZL19rocblas_axpy_kernelIiLi256EDF16_DF16_PKPKDF16_PKPDF16_EviT2_lT3_lT_lT4_lS9_li.num_vgpr, 7
	.set _ZL19rocblas_axpy_kernelIiLi256EDF16_DF16_PKPKDF16_PKPDF16_EviT2_lT3_lT_lT4_lS9_li.num_agpr, 0
	.set _ZL19rocblas_axpy_kernelIiLi256EDF16_DF16_PKPKDF16_PKPDF16_EviT2_lT3_lT_lT4_lS9_li.numbered_sgpr, 18
	.set _ZL19rocblas_axpy_kernelIiLi256EDF16_DF16_PKPKDF16_PKPDF16_EviT2_lT3_lT_lT4_lS9_li.num_named_barrier, 0
	.set _ZL19rocblas_axpy_kernelIiLi256EDF16_DF16_PKPKDF16_PKPDF16_EviT2_lT3_lT_lT4_lS9_li.private_seg_size, 0
	.set _ZL19rocblas_axpy_kernelIiLi256EDF16_DF16_PKPKDF16_PKPDF16_EviT2_lT3_lT_lT4_lS9_li.uses_vcc, 1
	.set _ZL19rocblas_axpy_kernelIiLi256EDF16_DF16_PKPKDF16_PKPDF16_EviT2_lT3_lT_lT4_lS9_li.uses_flat_scratch, 0
	.set _ZL19rocblas_axpy_kernelIiLi256EDF16_DF16_PKPKDF16_PKPDF16_EviT2_lT3_lT_lT4_lS9_li.has_dyn_sized_stack, 0
	.set _ZL19rocblas_axpy_kernelIiLi256EDF16_DF16_PKPKDF16_PKPDF16_EviT2_lT3_lT_lT4_lS9_li.has_recursion, 0
	.set _ZL19rocblas_axpy_kernelIiLi256EDF16_DF16_PKPKDF16_PKPDF16_EviT2_lT3_lT_lT4_lS9_li.has_indirect_call, 0
	.section	.AMDGPU.csdata,"",@progbits
; Kernel info:
; codeLenInByte = 288
; TotalNumSgprs: 22
; NumVgprs: 7
; ScratchSize: 0
; MemoryBound: 0
; FloatMode: 240
; IeeeMode: 1
; LDSByteSize: 0 bytes/workgroup (compile time only)
; SGPRBlocks: 2
; VGPRBlocks: 1
; NumSGPRsForWavesPerEU: 22
; NumVGPRsForWavesPerEU: 7
; Occupancy: 10
; WaveLimiterHint : 1
; COMPUTE_PGM_RSRC2:SCRATCH_EN: 0
; COMPUTE_PGM_RSRC2:USER_SGPR: 6
; COMPUTE_PGM_RSRC2:TRAP_HANDLER: 0
; COMPUTE_PGM_RSRC2:TGID_X_EN: 1
; COMPUTE_PGM_RSRC2:TGID_Y_EN: 0
; COMPUTE_PGM_RSRC2:TGID_Z_EN: 1
; COMPUTE_PGM_RSRC2:TIDIG_COMP_CNT: 0
	.section	.text._ZL26rocblas_haxpy_mlt_8_kernelILi256EPKDF16_PKPKfPKPfEviT0_lT1_llT2_lli,"axG",@progbits,_ZL26rocblas_haxpy_mlt_8_kernelILi256EPKDF16_PKPKfPKPfEviT0_lT1_llT2_lli,comdat
	.globl	_ZL26rocblas_haxpy_mlt_8_kernelILi256EPKDF16_PKPKfPKPfEviT0_lT1_llT2_lli ; -- Begin function _ZL26rocblas_haxpy_mlt_8_kernelILi256EPKDF16_PKPKfPKPfEviT0_lT1_llT2_lli
	.p2align	8
	.type	_ZL26rocblas_haxpy_mlt_8_kernelILi256EPKDF16_PKPKfPKPfEviT0_lT1_llT2_lli,@function
_ZL26rocblas_haxpy_mlt_8_kernelILi256EPKDF16_PKPKfPKPfEviT0_lT1_llT2_lli: ; @_ZL26rocblas_haxpy_mlt_8_kernelILi256EPKDF16_PKPKfPKPfEviT0_lT1_llT2_lli
; %bb.0:
	s_load_dwordx8 s[8:15], s[4:5], 0x8
	v_mov_b32_e32 v1, 0
	s_waitcnt lgkmcnt(0)
	s_mul_i32 s1, s11, s7
	s_mul_hi_u32 s2, s10, s7
	s_add_i32 s3, s2, s1
	s_mul_i32 s2, s10, s7
	s_lshl_b64 s[2:3], s[2:3], 1
	s_add_u32 s2, s8, s2
	s_addc_u32 s3, s9, s3
	global_load_ushort v2, v1, s[2:3]
	s_mov_b32 s1, 0
	s_waitcnt vmcnt(0)
	v_and_b32_e32 v3, 0xffff, v2
	v_lshl_or_b32 v3, v2, 16, v3
	v_and_b32_e32 v3, 0x7fff, v3
	v_cmp_eq_u32_e32 vcc, 0, v3
	s_cbranch_vccnz .LBB52_3
; %bb.1:
	s_load_dword s2, s[4:5], 0x0
	v_lshl_or_b32 v0, s6, 8, v0
	v_lshlrev_b64 v[0:1], 3, v[0:1]
	s_waitcnt lgkmcnt(0)
	s_ashr_i32 s3, s2, 31
	v_cmp_gt_i64_e32 vcc, s[2:3], v[0:1]
	s_and_saveexec_b64 s[2:3], vcc
	s_cbranch_execz .LBB52_3
; %bb.2:
	s_mov_b32 s0, s7
	s_lshl_b64 s[6:7], s[0:1], 3
	s_add_u32 s8, s12, s6
	s_addc_u32 s9, s13, s7
	s_load_dwordx2 s[10:11], s[8:9], 0x0
	s_load_dwordx4 s[0:3], s[4:5], 0x30
	s_lshl_b64 s[4:5], s[14:15], 2
	v_lshlrev_b64 v[0:1], 2, v[0:1]
	s_waitcnt lgkmcnt(0)
	s_add_u32 s4, s10, s4
	s_addc_u32 s5, s11, s5
	s_add_u32 s0, s0, s6
	s_addc_u32 s1, s1, s7
	s_load_dwordx2 s[0:1], s[0:1], 0x0
	s_lshl_b64 s[2:3], s[2:3], 2
	v_mov_b32_e32 v3, s5
	v_add_co_u32_e32 v11, vcc, s4, v0
	s_waitcnt lgkmcnt(0)
	s_add_u32 s0, s0, s2
	v_addc_co_u32_e32 v12, vcc, v3, v1, vcc
	s_addc_u32 s1, s1, s3
	v_mov_b32_e32 v3, s1
	v_add_co_u32_e32 v0, vcc, s0, v0
	v_addc_co_u32_e32 v1, vcc, v3, v1, vcc
	flat_load_dwordx4 v[3:6], v[11:12]
	flat_load_dwordx4 v[7:10], v[0:1]
	s_waitcnt vmcnt(0) lgkmcnt(0)
	v_pk_fma_f16 v6, v2, v6, v10 op_sel_hi:[0,1,1]
	v_pk_fma_f16 v5, v2, v5, v9 op_sel_hi:[0,1,1]
	;; [unrolled: 1-line block ×4, first 2 shown]
	flat_store_dwordx4 v[0:1], v[3:6]
.LBB52_3:
	s_endpgm
	.section	.rodata,"a",@progbits
	.p2align	6, 0x0
	.amdhsa_kernel _ZL26rocblas_haxpy_mlt_8_kernelILi256EPKDF16_PKPKfPKPfEviT0_lT1_llT2_lli
		.amdhsa_group_segment_fixed_size 0
		.amdhsa_private_segment_fixed_size 0
		.amdhsa_kernarg_size 76
		.amdhsa_user_sgpr_count 6
		.amdhsa_user_sgpr_private_segment_buffer 1
		.amdhsa_user_sgpr_dispatch_ptr 0
		.amdhsa_user_sgpr_queue_ptr 0
		.amdhsa_user_sgpr_kernarg_segment_ptr 1
		.amdhsa_user_sgpr_dispatch_id 0
		.amdhsa_user_sgpr_flat_scratch_init 0
		.amdhsa_user_sgpr_private_segment_size 0
		.amdhsa_uses_dynamic_stack 0
		.amdhsa_system_sgpr_private_segment_wavefront_offset 0
		.amdhsa_system_sgpr_workgroup_id_x 1
		.amdhsa_system_sgpr_workgroup_id_y 0
		.amdhsa_system_sgpr_workgroup_id_z 1
		.amdhsa_system_sgpr_workgroup_info 0
		.amdhsa_system_vgpr_workitem_id 0
		.amdhsa_next_free_vgpr 13
		.amdhsa_next_free_sgpr 16
		.amdhsa_reserve_vcc 1
		.amdhsa_reserve_flat_scratch 0
		.amdhsa_float_round_mode_32 0
		.amdhsa_float_round_mode_16_64 0
		.amdhsa_float_denorm_mode_32 3
		.amdhsa_float_denorm_mode_16_64 3
		.amdhsa_dx10_clamp 1
		.amdhsa_ieee_mode 1
		.amdhsa_fp16_overflow 0
		.amdhsa_exception_fp_ieee_invalid_op 0
		.amdhsa_exception_fp_denorm_src 0
		.amdhsa_exception_fp_ieee_div_zero 0
		.amdhsa_exception_fp_ieee_overflow 0
		.amdhsa_exception_fp_ieee_underflow 0
		.amdhsa_exception_fp_ieee_inexact 0
		.amdhsa_exception_int_div_zero 0
	.end_amdhsa_kernel
	.section	.text._ZL26rocblas_haxpy_mlt_8_kernelILi256EPKDF16_PKPKfPKPfEviT0_lT1_llT2_lli,"axG",@progbits,_ZL26rocblas_haxpy_mlt_8_kernelILi256EPKDF16_PKPKfPKPfEviT0_lT1_llT2_lli,comdat
.Lfunc_end52:
	.size	_ZL26rocblas_haxpy_mlt_8_kernelILi256EPKDF16_PKPKfPKPfEviT0_lT1_llT2_lli, .Lfunc_end52-_ZL26rocblas_haxpy_mlt_8_kernelILi256EPKDF16_PKPKfPKPfEviT0_lT1_llT2_lli
                                        ; -- End function
	.set _ZL26rocblas_haxpy_mlt_8_kernelILi256EPKDF16_PKPKfPKPfEviT0_lT1_llT2_lli.num_vgpr, 13
	.set _ZL26rocblas_haxpy_mlt_8_kernelILi256EPKDF16_PKPKfPKPfEviT0_lT1_llT2_lli.num_agpr, 0
	.set _ZL26rocblas_haxpy_mlt_8_kernelILi256EPKDF16_PKPKfPKPfEviT0_lT1_llT2_lli.numbered_sgpr, 16
	.set _ZL26rocblas_haxpy_mlt_8_kernelILi256EPKDF16_PKPKfPKPfEviT0_lT1_llT2_lli.num_named_barrier, 0
	.set _ZL26rocblas_haxpy_mlt_8_kernelILi256EPKDF16_PKPKfPKPfEviT0_lT1_llT2_lli.private_seg_size, 0
	.set _ZL26rocblas_haxpy_mlt_8_kernelILi256EPKDF16_PKPKfPKPfEviT0_lT1_llT2_lli.uses_vcc, 1
	.set _ZL26rocblas_haxpy_mlt_8_kernelILi256EPKDF16_PKPKfPKPfEviT0_lT1_llT2_lli.uses_flat_scratch, 0
	.set _ZL26rocblas_haxpy_mlt_8_kernelILi256EPKDF16_PKPKfPKPfEviT0_lT1_llT2_lli.has_dyn_sized_stack, 0
	.set _ZL26rocblas_haxpy_mlt_8_kernelILi256EPKDF16_PKPKfPKPfEviT0_lT1_llT2_lli.has_recursion, 0
	.set _ZL26rocblas_haxpy_mlt_8_kernelILi256EPKDF16_PKPKfPKPfEviT0_lT1_llT2_lli.has_indirect_call, 0
	.section	.AMDGPU.csdata,"",@progbits
; Kernel info:
; codeLenInByte = 312
; TotalNumSgprs: 20
; NumVgprs: 13
; ScratchSize: 0
; MemoryBound: 0
; FloatMode: 240
; IeeeMode: 1
; LDSByteSize: 0 bytes/workgroup (compile time only)
; SGPRBlocks: 2
; VGPRBlocks: 3
; NumSGPRsForWavesPerEU: 20
; NumVGPRsForWavesPerEU: 13
; Occupancy: 10
; WaveLimiterHint : 1
; COMPUTE_PGM_RSRC2:SCRATCH_EN: 0
; COMPUTE_PGM_RSRC2:USER_SGPR: 6
; COMPUTE_PGM_RSRC2:TRAP_HANDLER: 0
; COMPUTE_PGM_RSRC2:TGID_X_EN: 1
; COMPUTE_PGM_RSRC2:TGID_Y_EN: 0
; COMPUTE_PGM_RSRC2:TGID_Z_EN: 1
; COMPUTE_PGM_RSRC2:TIDIG_COMP_CNT: 0
	.section	.text._ZL26rocblas_haxpy_mod_8_kernelILi256EPKfPKS1_PKPfEviT0_lT1_llT2_lli,"axG",@progbits,_ZL26rocblas_haxpy_mod_8_kernelILi256EPKfPKS1_PKPfEviT0_lT1_llT2_lli,comdat
	.globl	_ZL26rocblas_haxpy_mod_8_kernelILi256EPKfPKS1_PKPfEviT0_lT1_llT2_lli ; -- Begin function _ZL26rocblas_haxpy_mod_8_kernelILi256EPKfPKS1_PKPfEviT0_lT1_llT2_lli
	.p2align	8
	.type	_ZL26rocblas_haxpy_mod_8_kernelILi256EPKfPKS1_PKPfEviT0_lT1_llT2_lli,@function
_ZL26rocblas_haxpy_mod_8_kernelILi256EPKfPKS1_PKPfEviT0_lT1_llT2_lli: ; @_ZL26rocblas_haxpy_mod_8_kernelILi256EPKfPKS1_PKPfEviT0_lT1_llT2_lli
; %bb.0:
	s_load_dword s16, s[4:5], 0x0
	s_load_dwordx8 s[8:15], s[4:5], 0x8
	v_lshl_or_b32 v0, s6, 8, v0
	v_mov_b32_e32 v1, 0
	s_mov_b32 s0, s7
	s_waitcnt lgkmcnt(0)
	s_ashr_i32 s17, s16, 31
	s_mul_i32 s1, s11, s7
	s_mul_hi_u32 s2, s10, s7
	s_add_i32 s3, s2, s1
	s_mul_i32 s2, s10, s7
	s_lshl_b64 s[2:3], s[2:3], 2
	s_add_u32 s2, s8, s2
	s_addc_u32 s3, s9, s3
	s_load_dword s2, s[2:3], 0x0
	v_cmp_gt_i64_e32 vcc, s[16:17], v[0:1]
	s_waitcnt lgkmcnt(0)
	v_cmp_neq_f32_e64 s[6:7], s2, 0
	s_and_b64 s[6:7], vcc, s[6:7]
	s_and_saveexec_b64 s[8:9], s[6:7]
	s_cbranch_execz .LBB53_2
; %bb.1:
	s_mov_b32 s1, 0
	s_lshl_b64 s[0:1], s[0:1], 3
	s_add_u32 s6, s12, s0
	s_addc_u32 s7, s13, s1
	s_load_dwordx2 s[12:13], s[6:7], 0x0
	s_load_dwordx4 s[8:11], s[4:5], 0x30
	s_lshl_b64 s[4:5], s[14:15], 2
	v_lshlrev_b64 v[0:1], 2, v[0:1]
	s_waitcnt lgkmcnt(0)
	s_add_u32 s3, s12, s4
	s_addc_u32 s4, s13, s5
	s_add_u32 s0, s8, s0
	s_addc_u32 s1, s9, s1
	s_load_dwordx2 s[0:1], s[0:1], 0x0
	v_mov_b32_e32 v3, s4
	s_lshl_b64 s[4:5], s[10:11], 2
	v_add_co_u32_e32 v2, vcc, s3, v0
	s_waitcnt lgkmcnt(0)
	s_add_u32 s0, s0, s4
	v_addc_co_u32_e32 v3, vcc, v3, v1, vcc
	s_addc_u32 s1, s1, s5
	v_mov_b32_e32 v4, s1
	v_add_co_u32_e32 v0, vcc, s0, v0
	v_addc_co_u32_e32 v1, vcc, v4, v1, vcc
	flat_load_dword v4, v[2:3]
	flat_load_dword v5, v[0:1]
	s_waitcnt vmcnt(0) lgkmcnt(0)
	v_fmac_f32_e32 v5, s2, v4
	flat_store_dword v[0:1], v5
.LBB53_2:
	s_endpgm
	.section	.rodata,"a",@progbits
	.p2align	6, 0x0
	.amdhsa_kernel _ZL26rocblas_haxpy_mod_8_kernelILi256EPKfPKS1_PKPfEviT0_lT1_llT2_lli
		.amdhsa_group_segment_fixed_size 0
		.amdhsa_private_segment_fixed_size 0
		.amdhsa_kernarg_size 76
		.amdhsa_user_sgpr_count 6
		.amdhsa_user_sgpr_private_segment_buffer 1
		.amdhsa_user_sgpr_dispatch_ptr 0
		.amdhsa_user_sgpr_queue_ptr 0
		.amdhsa_user_sgpr_kernarg_segment_ptr 1
		.amdhsa_user_sgpr_dispatch_id 0
		.amdhsa_user_sgpr_flat_scratch_init 0
		.amdhsa_user_sgpr_private_segment_size 0
		.amdhsa_uses_dynamic_stack 0
		.amdhsa_system_sgpr_private_segment_wavefront_offset 0
		.amdhsa_system_sgpr_workgroup_id_x 1
		.amdhsa_system_sgpr_workgroup_id_y 0
		.amdhsa_system_sgpr_workgroup_id_z 1
		.amdhsa_system_sgpr_workgroup_info 0
		.amdhsa_system_vgpr_workitem_id 0
		.amdhsa_next_free_vgpr 6
		.amdhsa_next_free_sgpr 18
		.amdhsa_reserve_vcc 1
		.amdhsa_reserve_flat_scratch 0
		.amdhsa_float_round_mode_32 0
		.amdhsa_float_round_mode_16_64 0
		.amdhsa_float_denorm_mode_32 3
		.amdhsa_float_denorm_mode_16_64 3
		.amdhsa_dx10_clamp 1
		.amdhsa_ieee_mode 1
		.amdhsa_fp16_overflow 0
		.amdhsa_exception_fp_ieee_invalid_op 0
		.amdhsa_exception_fp_denorm_src 0
		.amdhsa_exception_fp_ieee_div_zero 0
		.amdhsa_exception_fp_ieee_overflow 0
		.amdhsa_exception_fp_ieee_underflow 0
		.amdhsa_exception_fp_ieee_inexact 0
		.amdhsa_exception_int_div_zero 0
	.end_amdhsa_kernel
	.section	.text._ZL26rocblas_haxpy_mod_8_kernelILi256EPKfPKS1_PKPfEviT0_lT1_llT2_lli,"axG",@progbits,_ZL26rocblas_haxpy_mod_8_kernelILi256EPKfPKS1_PKPfEviT0_lT1_llT2_lli,comdat
.Lfunc_end53:
	.size	_ZL26rocblas_haxpy_mod_8_kernelILi256EPKfPKS1_PKPfEviT0_lT1_llT2_lli, .Lfunc_end53-_ZL26rocblas_haxpy_mod_8_kernelILi256EPKfPKS1_PKPfEviT0_lT1_llT2_lli
                                        ; -- End function
	.set _ZL26rocblas_haxpy_mod_8_kernelILi256EPKfPKS1_PKPfEviT0_lT1_llT2_lli.num_vgpr, 6
	.set _ZL26rocblas_haxpy_mod_8_kernelILi256EPKfPKS1_PKPfEviT0_lT1_llT2_lli.num_agpr, 0
	.set _ZL26rocblas_haxpy_mod_8_kernelILi256EPKfPKS1_PKPfEviT0_lT1_llT2_lli.numbered_sgpr, 18
	.set _ZL26rocblas_haxpy_mod_8_kernelILi256EPKfPKS1_PKPfEviT0_lT1_llT2_lli.num_named_barrier, 0
	.set _ZL26rocblas_haxpy_mod_8_kernelILi256EPKfPKS1_PKPfEviT0_lT1_llT2_lli.private_seg_size, 0
	.set _ZL26rocblas_haxpy_mod_8_kernelILi256EPKfPKS1_PKPfEviT0_lT1_llT2_lli.uses_vcc, 1
	.set _ZL26rocblas_haxpy_mod_8_kernelILi256EPKfPKS1_PKPfEviT0_lT1_llT2_lli.uses_flat_scratch, 0
	.set _ZL26rocblas_haxpy_mod_8_kernelILi256EPKfPKS1_PKPfEviT0_lT1_llT2_lli.has_dyn_sized_stack, 0
	.set _ZL26rocblas_haxpy_mod_8_kernelILi256EPKfPKS1_PKPfEviT0_lT1_llT2_lli.has_recursion, 0
	.set _ZL26rocblas_haxpy_mod_8_kernelILi256EPKfPKS1_PKPfEviT0_lT1_llT2_lli.has_indirect_call, 0
	.section	.AMDGPU.csdata,"",@progbits
; Kernel info:
; codeLenInByte = 252
; TotalNumSgprs: 22
; NumVgprs: 6
; ScratchSize: 0
; MemoryBound: 0
; FloatMode: 240
; IeeeMode: 1
; LDSByteSize: 0 bytes/workgroup (compile time only)
; SGPRBlocks: 2
; VGPRBlocks: 1
; NumSGPRsForWavesPerEU: 22
; NumVGPRsForWavesPerEU: 6
; Occupancy: 10
; WaveLimiterHint : 1
; COMPUTE_PGM_RSRC2:SCRATCH_EN: 0
; COMPUTE_PGM_RSRC2:USER_SGPR: 6
; COMPUTE_PGM_RSRC2:TRAP_HANDLER: 0
; COMPUTE_PGM_RSRC2:TGID_X_EN: 1
; COMPUTE_PGM_RSRC2:TGID_Y_EN: 0
; COMPUTE_PGM_RSRC2:TGID_Z_EN: 1
; COMPUTE_PGM_RSRC2:TIDIG_COMP_CNT: 0
	.section	.text._ZL26rocblas_haxpy_mlt_8_kernelILi256EDF16_PKPKfPKPfEviT0_lT1_llT2_lli,"axG",@progbits,_ZL26rocblas_haxpy_mlt_8_kernelILi256EDF16_PKPKfPKPfEviT0_lT1_llT2_lli,comdat
	.globl	_ZL26rocblas_haxpy_mlt_8_kernelILi256EDF16_PKPKfPKPfEviT0_lT1_llT2_lli ; -- Begin function _ZL26rocblas_haxpy_mlt_8_kernelILi256EDF16_PKPKfPKPfEviT0_lT1_llT2_lli
	.p2align	8
	.type	_ZL26rocblas_haxpy_mlt_8_kernelILi256EDF16_PKPKfPKPfEviT0_lT1_llT2_lli,@function
_ZL26rocblas_haxpy_mlt_8_kernelILi256EDF16_PKPKfPKPfEviT0_lT1_llT2_lli: ; @_ZL26rocblas_haxpy_mlt_8_kernelILi256EDF16_PKPKfPKPfEviT0_lT1_llT2_lli
; %bb.0:
	s_load_dwordx2 s[0:1], s[4:5], 0x0
	s_waitcnt lgkmcnt(0)
	s_pack_ll_b32_b16 s3, s1, s1
	s_and_b32 s3, s3, 0x7fff
	s_cmp_eq_u32 s3, 0
	s_cbranch_scc1 .LBB54_3
; %bb.1:
	v_lshl_or_b32 v0, s6, 8, v0
	v_mov_b32_e32 v1, 0
	v_lshlrev_b64 v[0:1], 3, v[0:1]
	s_mov_b32 s2, s7
	s_ashr_i32 s7, s0, 31
	s_mov_b32 s6, s0
	v_cmp_gt_i64_e32 vcc, s[6:7], v[0:1]
	s_and_saveexec_b64 s[6:7], vcc
	s_cbranch_execz .LBB54_3
; %bb.2:
	s_load_dwordx4 s[8:11], s[4:5], 0x10
	s_load_dwordx4 s[12:15], s[4:5], 0x28
	s_mov_b32 s3, 0
	s_lshl_b64 s[2:3], s[2:3], 3
	v_lshlrev_b64 v[0:1], 2, v[0:1]
	s_waitcnt lgkmcnt(0)
	s_add_u32 s4, s8, s2
	s_addc_u32 s5, s9, s3
	s_load_dwordx2 s[4:5], s[4:5], 0x0
	s_lshl_b64 s[6:7], s[10:11], 2
	s_waitcnt lgkmcnt(0)
	s_add_u32 s0, s4, s6
	s_addc_u32 s4, s5, s7
	s_add_u32 s2, s12, s2
	s_addc_u32 s3, s13, s3
	s_load_dwordx2 s[2:3], s[2:3], 0x0
	v_mov_b32_e32 v2, s4
	s_lshl_b64 s[4:5], s[14:15], 2
	v_add_co_u32_e32 v8, vcc, s0, v0
	s_waitcnt lgkmcnt(0)
	s_add_u32 s0, s2, s4
	v_addc_co_u32_e32 v9, vcc, v2, v1, vcc
	s_addc_u32 s2, s3, s5
	v_mov_b32_e32 v2, s2
	v_add_co_u32_e32 v10, vcc, s0, v0
	v_addc_co_u32_e32 v11, vcc, v2, v1, vcc
	flat_load_dwordx4 v[0:3], v[8:9]
	flat_load_dwordx4 v[4:7], v[10:11]
	s_waitcnt vmcnt(0) lgkmcnt(0)
	v_pk_fma_f16 v3, s1, v3, v7 op_sel_hi:[0,1,1]
	v_pk_fma_f16 v2, s1, v2, v6 op_sel_hi:[0,1,1]
	;; [unrolled: 1-line block ×4, first 2 shown]
	flat_store_dwordx4 v[10:11], v[0:3]
.LBB54_3:
	s_endpgm
	.section	.rodata,"a",@progbits
	.p2align	6, 0x0
	.amdhsa_kernel _ZL26rocblas_haxpy_mlt_8_kernelILi256EDF16_PKPKfPKPfEviT0_lT1_llT2_lli
		.amdhsa_group_segment_fixed_size 0
		.amdhsa_private_segment_fixed_size 0
		.amdhsa_kernarg_size 68
		.amdhsa_user_sgpr_count 6
		.amdhsa_user_sgpr_private_segment_buffer 1
		.amdhsa_user_sgpr_dispatch_ptr 0
		.amdhsa_user_sgpr_queue_ptr 0
		.amdhsa_user_sgpr_kernarg_segment_ptr 1
		.amdhsa_user_sgpr_dispatch_id 0
		.amdhsa_user_sgpr_flat_scratch_init 0
		.amdhsa_user_sgpr_private_segment_size 0
		.amdhsa_uses_dynamic_stack 0
		.amdhsa_system_sgpr_private_segment_wavefront_offset 0
		.amdhsa_system_sgpr_workgroup_id_x 1
		.amdhsa_system_sgpr_workgroup_id_y 0
		.amdhsa_system_sgpr_workgroup_id_z 1
		.amdhsa_system_sgpr_workgroup_info 0
		.amdhsa_system_vgpr_workitem_id 0
		.amdhsa_next_free_vgpr 12
		.amdhsa_next_free_sgpr 16
		.amdhsa_reserve_vcc 1
		.amdhsa_reserve_flat_scratch 0
		.amdhsa_float_round_mode_32 0
		.amdhsa_float_round_mode_16_64 0
		.amdhsa_float_denorm_mode_32 3
		.amdhsa_float_denorm_mode_16_64 3
		.amdhsa_dx10_clamp 1
		.amdhsa_ieee_mode 1
		.amdhsa_fp16_overflow 0
		.amdhsa_exception_fp_ieee_invalid_op 0
		.amdhsa_exception_fp_denorm_src 0
		.amdhsa_exception_fp_ieee_div_zero 0
		.amdhsa_exception_fp_ieee_overflow 0
		.amdhsa_exception_fp_ieee_underflow 0
		.amdhsa_exception_fp_ieee_inexact 0
		.amdhsa_exception_int_div_zero 0
	.end_amdhsa_kernel
	.section	.text._ZL26rocblas_haxpy_mlt_8_kernelILi256EDF16_PKPKfPKPfEviT0_lT1_llT2_lli,"axG",@progbits,_ZL26rocblas_haxpy_mlt_8_kernelILi256EDF16_PKPKfPKPfEviT0_lT1_llT2_lli,comdat
.Lfunc_end54:
	.size	_ZL26rocblas_haxpy_mlt_8_kernelILi256EDF16_PKPKfPKPfEviT0_lT1_llT2_lli, .Lfunc_end54-_ZL26rocblas_haxpy_mlt_8_kernelILi256EDF16_PKPKfPKPfEviT0_lT1_llT2_lli
                                        ; -- End function
	.set _ZL26rocblas_haxpy_mlt_8_kernelILi256EDF16_PKPKfPKPfEviT0_lT1_llT2_lli.num_vgpr, 12
	.set _ZL26rocblas_haxpy_mlt_8_kernelILi256EDF16_PKPKfPKPfEviT0_lT1_llT2_lli.num_agpr, 0
	.set _ZL26rocblas_haxpy_mlt_8_kernelILi256EDF16_PKPKfPKPfEviT0_lT1_llT2_lli.numbered_sgpr, 16
	.set _ZL26rocblas_haxpy_mlt_8_kernelILi256EDF16_PKPKfPKPfEviT0_lT1_llT2_lli.num_named_barrier, 0
	.set _ZL26rocblas_haxpy_mlt_8_kernelILi256EDF16_PKPKfPKPfEviT0_lT1_llT2_lli.private_seg_size, 0
	.set _ZL26rocblas_haxpy_mlt_8_kernelILi256EDF16_PKPKfPKPfEviT0_lT1_llT2_lli.uses_vcc, 1
	.set _ZL26rocblas_haxpy_mlt_8_kernelILi256EDF16_PKPKfPKPfEviT0_lT1_llT2_lli.uses_flat_scratch, 0
	.set _ZL26rocblas_haxpy_mlt_8_kernelILi256EDF16_PKPKfPKPfEviT0_lT1_llT2_lli.has_dyn_sized_stack, 0
	.set _ZL26rocblas_haxpy_mlt_8_kernelILi256EDF16_PKPKfPKPfEviT0_lT1_llT2_lli.has_recursion, 0
	.set _ZL26rocblas_haxpy_mlt_8_kernelILi256EDF16_PKPKfPKPfEviT0_lT1_llT2_lli.has_indirect_call, 0
	.section	.AMDGPU.csdata,"",@progbits
; Kernel info:
; codeLenInByte = 264
; TotalNumSgprs: 20
; NumVgprs: 12
; ScratchSize: 0
; MemoryBound: 0
; FloatMode: 240
; IeeeMode: 1
; LDSByteSize: 0 bytes/workgroup (compile time only)
; SGPRBlocks: 2
; VGPRBlocks: 2
; NumSGPRsForWavesPerEU: 20
; NumVGPRsForWavesPerEU: 12
; Occupancy: 10
; WaveLimiterHint : 1
; COMPUTE_PGM_RSRC2:SCRATCH_EN: 0
; COMPUTE_PGM_RSRC2:USER_SGPR: 6
; COMPUTE_PGM_RSRC2:TRAP_HANDLER: 0
; COMPUTE_PGM_RSRC2:TGID_X_EN: 1
; COMPUTE_PGM_RSRC2:TGID_Y_EN: 0
; COMPUTE_PGM_RSRC2:TGID_Z_EN: 1
; COMPUTE_PGM_RSRC2:TIDIG_COMP_CNT: 0
	.section	.text._ZL26rocblas_haxpy_mod_8_kernelILi256EfPKPKfPKPfEviT0_lT1_llT2_lli,"axG",@progbits,_ZL26rocblas_haxpy_mod_8_kernelILi256EfPKPKfPKPfEviT0_lT1_llT2_lli,comdat
	.globl	_ZL26rocblas_haxpy_mod_8_kernelILi256EfPKPKfPKPfEviT0_lT1_llT2_lli ; -- Begin function _ZL26rocblas_haxpy_mod_8_kernelILi256EfPKPKfPKPfEviT0_lT1_llT2_lli
	.p2align	8
	.type	_ZL26rocblas_haxpy_mod_8_kernelILi256EfPKPKfPKPfEviT0_lT1_llT2_lli,@function
_ZL26rocblas_haxpy_mod_8_kernelILi256EfPKPKfPKPfEviT0_lT1_llT2_lli: ; @_ZL26rocblas_haxpy_mod_8_kernelILi256EfPKPKfPKPfEviT0_lT1_llT2_lli
; %bb.0:
	s_load_dwordx2 s[0:1], s[4:5], 0x0
	s_mov_b32 s2, s7
	v_lshl_or_b32 v0, s6, 8, v0
	v_mov_b32_e32 v1, 0
	s_mov_b32 s3, 0
	s_waitcnt lgkmcnt(0)
	s_ashr_i32 s7, s0, 31
	s_mov_b32 s6, s0
	v_cmp_gt_i64_e32 vcc, s[6:7], v[0:1]
	v_cmp_neq_f32_e64 s[6:7], s1, 0
	s_and_b64 s[6:7], s[6:7], vcc
	s_and_saveexec_b64 s[8:9], s[6:7]
	s_cbranch_execz .LBB55_2
; %bb.1:
	s_load_dwordx4 s[8:11], s[4:5], 0x10
	s_load_dwordx4 s[12:15], s[4:5], 0x28
	s_lshl_b64 s[2:3], s[2:3], 3
	v_lshlrev_b64 v[0:1], 2, v[0:1]
	s_waitcnt lgkmcnt(0)
	s_add_u32 s4, s8, s2
	s_addc_u32 s5, s9, s3
	s_load_dwordx2 s[4:5], s[4:5], 0x0
	s_lshl_b64 s[6:7], s[10:11], 2
	s_waitcnt lgkmcnt(0)
	s_add_u32 s0, s4, s6
	s_addc_u32 s4, s5, s7
	s_add_u32 s2, s12, s2
	s_addc_u32 s3, s13, s3
	s_load_dwordx2 s[2:3], s[2:3], 0x0
	v_mov_b32_e32 v3, s4
	s_lshl_b64 s[4:5], s[14:15], 2
	v_add_co_u32_e32 v2, vcc, s0, v0
	s_waitcnt lgkmcnt(0)
	s_add_u32 s0, s2, s4
	v_addc_co_u32_e32 v3, vcc, v3, v1, vcc
	s_addc_u32 s2, s3, s5
	v_mov_b32_e32 v4, s2
	v_add_co_u32_e32 v0, vcc, s0, v0
	v_addc_co_u32_e32 v1, vcc, v4, v1, vcc
	flat_load_dword v4, v[2:3]
	flat_load_dword v5, v[0:1]
	s_waitcnt vmcnt(0) lgkmcnt(0)
	v_fmac_f32_e32 v5, s1, v4
	flat_store_dword v[0:1], v5
.LBB55_2:
	s_endpgm
	.section	.rodata,"a",@progbits
	.p2align	6, 0x0
	.amdhsa_kernel _ZL26rocblas_haxpy_mod_8_kernelILi256EfPKPKfPKPfEviT0_lT1_llT2_lli
		.amdhsa_group_segment_fixed_size 0
		.amdhsa_private_segment_fixed_size 0
		.amdhsa_kernarg_size 68
		.amdhsa_user_sgpr_count 6
		.amdhsa_user_sgpr_private_segment_buffer 1
		.amdhsa_user_sgpr_dispatch_ptr 0
		.amdhsa_user_sgpr_queue_ptr 0
		.amdhsa_user_sgpr_kernarg_segment_ptr 1
		.amdhsa_user_sgpr_dispatch_id 0
		.amdhsa_user_sgpr_flat_scratch_init 0
		.amdhsa_user_sgpr_private_segment_size 0
		.amdhsa_uses_dynamic_stack 0
		.amdhsa_system_sgpr_private_segment_wavefront_offset 0
		.amdhsa_system_sgpr_workgroup_id_x 1
		.amdhsa_system_sgpr_workgroup_id_y 0
		.amdhsa_system_sgpr_workgroup_id_z 1
		.amdhsa_system_sgpr_workgroup_info 0
		.amdhsa_system_vgpr_workitem_id 0
		.amdhsa_next_free_vgpr 6
		.amdhsa_next_free_sgpr 16
		.amdhsa_reserve_vcc 1
		.amdhsa_reserve_flat_scratch 0
		.amdhsa_float_round_mode_32 0
		.amdhsa_float_round_mode_16_64 0
		.amdhsa_float_denorm_mode_32 3
		.amdhsa_float_denorm_mode_16_64 3
		.amdhsa_dx10_clamp 1
		.amdhsa_ieee_mode 1
		.amdhsa_fp16_overflow 0
		.amdhsa_exception_fp_ieee_invalid_op 0
		.amdhsa_exception_fp_denorm_src 0
		.amdhsa_exception_fp_ieee_div_zero 0
		.amdhsa_exception_fp_ieee_overflow 0
		.amdhsa_exception_fp_ieee_underflow 0
		.amdhsa_exception_fp_ieee_inexact 0
		.amdhsa_exception_int_div_zero 0
	.end_amdhsa_kernel
	.section	.text._ZL26rocblas_haxpy_mod_8_kernelILi256EfPKPKfPKPfEviT0_lT1_llT2_lli,"axG",@progbits,_ZL26rocblas_haxpy_mod_8_kernelILi256EfPKPKfPKPfEviT0_lT1_llT2_lli,comdat
.Lfunc_end55:
	.size	_ZL26rocblas_haxpy_mod_8_kernelILi256EfPKPKfPKPfEviT0_lT1_llT2_lli, .Lfunc_end55-_ZL26rocblas_haxpy_mod_8_kernelILi256EfPKPKfPKPfEviT0_lT1_llT2_lli
                                        ; -- End function
	.set _ZL26rocblas_haxpy_mod_8_kernelILi256EfPKPKfPKPfEviT0_lT1_llT2_lli.num_vgpr, 6
	.set _ZL26rocblas_haxpy_mod_8_kernelILi256EfPKPKfPKPfEviT0_lT1_llT2_lli.num_agpr, 0
	.set _ZL26rocblas_haxpy_mod_8_kernelILi256EfPKPKfPKPfEviT0_lT1_llT2_lli.numbered_sgpr, 16
	.set _ZL26rocblas_haxpy_mod_8_kernelILi256EfPKPKfPKPfEviT0_lT1_llT2_lli.num_named_barrier, 0
	.set _ZL26rocblas_haxpy_mod_8_kernelILi256EfPKPKfPKPfEviT0_lT1_llT2_lli.private_seg_size, 0
	.set _ZL26rocblas_haxpy_mod_8_kernelILi256EfPKPKfPKPfEviT0_lT1_llT2_lli.uses_vcc, 1
	.set _ZL26rocblas_haxpy_mod_8_kernelILi256EfPKPKfPKPfEviT0_lT1_llT2_lli.uses_flat_scratch, 0
	.set _ZL26rocblas_haxpy_mod_8_kernelILi256EfPKPKfPKPfEviT0_lT1_llT2_lli.has_dyn_sized_stack, 0
	.set _ZL26rocblas_haxpy_mod_8_kernelILi256EfPKPKfPKPfEviT0_lT1_llT2_lli.has_recursion, 0
	.set _ZL26rocblas_haxpy_mod_8_kernelILi256EfPKPKfPKPfEviT0_lT1_llT2_lli.has_indirect_call, 0
	.section	.AMDGPU.csdata,"",@progbits
; Kernel info:
; codeLenInByte = 220
; TotalNumSgprs: 20
; NumVgprs: 6
; ScratchSize: 0
; MemoryBound: 0
; FloatMode: 240
; IeeeMode: 1
; LDSByteSize: 0 bytes/workgroup (compile time only)
; SGPRBlocks: 2
; VGPRBlocks: 1
; NumSGPRsForWavesPerEU: 20
; NumVGPRsForWavesPerEU: 6
; Occupancy: 10
; WaveLimiterHint : 1
; COMPUTE_PGM_RSRC2:SCRATCH_EN: 0
; COMPUTE_PGM_RSRC2:USER_SGPR: 6
; COMPUTE_PGM_RSRC2:TRAP_HANDLER: 0
; COMPUTE_PGM_RSRC2:TGID_X_EN: 1
; COMPUTE_PGM_RSRC2:TGID_Y_EN: 0
; COMPUTE_PGM_RSRC2:TGID_Z_EN: 1
; COMPUTE_PGM_RSRC2:TIDIG_COMP_CNT: 0
	.section	.text._ZL22rocblas_saxpy_2_kernelILi256EfPKfPKS1_PKPfEviT1_lT2_llT3_lli,"axG",@progbits,_ZL22rocblas_saxpy_2_kernelILi256EfPKfPKS1_PKPfEviT1_lT2_llT3_lli,comdat
	.globl	_ZL22rocblas_saxpy_2_kernelILi256EfPKfPKS1_PKPfEviT1_lT2_llT3_lli ; -- Begin function _ZL22rocblas_saxpy_2_kernelILi256EfPKfPKS1_PKPfEviT1_lT2_llT3_lli
	.p2align	8
	.type	_ZL22rocblas_saxpy_2_kernelILi256EfPKfPKS1_PKPfEviT1_lT2_llT3_lli,@function
_ZL22rocblas_saxpy_2_kernelILi256EfPKfPKS1_PKPfEviT1_lT2_llT3_lli: ; @_ZL22rocblas_saxpy_2_kernelILi256EfPKfPKS1_PKPfEviT1_lT2_llT3_lli
; %bb.0:
	s_load_dwordx4 s[8:11], s[4:5], 0x8
	s_mov_b32 s0, s7
	s_waitcnt lgkmcnt(0)
	s_mul_i32 s1, s11, s7
	s_mul_hi_u32 s2, s10, s7
	s_add_i32 s3, s2, s1
	s_mul_i32 s2, s10, s7
	s_lshl_b64 s[2:3], s[2:3], 2
	s_add_u32 s2, s8, s2
	s_addc_u32 s3, s9, s3
	s_load_dword s7, s[2:3], 0x0
	s_waitcnt lgkmcnt(0)
	v_cmp_eq_f32_e64 s[2:3], s7, 0
	s_and_b64 vcc, exec, s[2:3]
	s_cbranch_vccnz .LBB56_5
; %bb.1:
	s_load_dwordx4 s[12:15], s[4:5], 0x18
	s_load_dword s8, s[4:5], 0x0
	s_mov_b32 s1, 0
	s_lshl_b64 s[10:11], s[0:1], 3
	v_lshlrev_b32_e32 v0, 1, v0
	s_waitcnt lgkmcnt(0)
	s_add_u32 s12, s12, s10
	s_addc_u32 s13, s13, s11
	s_load_dwordx2 s[16:17], s[12:13], 0x0
	s_load_dwordx4 s[0:3], s[4:5], 0x30
	s_lshl_b64 s[4:5], s[14:15], 2
	v_lshl_or_b32 v2, s6, 9, v0
	v_mov_b32_e32 v3, 0
	s_waitcnt lgkmcnt(0)
	s_add_u32 s4, s16, s4
	s_addc_u32 s5, s17, s5
	s_add_u32 s0, s0, s10
	s_addc_u32 s1, s1, s11
	s_load_dwordx2 s[0:1], s[0:1], 0x0
	s_lshl_b64 s[2:3], s[2:3], 2
	v_lshlrev_b64 v[0:1], 2, v[2:3]
	s_waitcnt lgkmcnt(0)
	s_add_u32 s6, s0, s2
	s_addc_u32 s9, s1, s3
	s_add_i32 s0, s8, -1
	s_ashr_i32 s1, s0, 31
	v_cmp_gt_i64_e32 vcc, s[0:1], v[2:3]
	s_and_saveexec_b64 s[2:3], vcc
	s_cbranch_execz .LBB56_3
; %bb.2:
	v_mov_b32_e32 v5, s9
	v_add_co_u32_e32 v4, vcc, s6, v0
	v_addc_co_u32_e32 v5, vcc, v5, v1, vcc
	v_mov_b32_e32 v9, s5
	v_add_co_u32_e32 v8, vcc, s4, v0
	v_addc_co_u32_e32 v9, vcc, v9, v1, vcc
	flat_load_dwordx2 v[6:7], v[4:5]
	flat_load_dword v10, v[8:9]
	s_waitcnt vmcnt(0) lgkmcnt(0)
	v_fma_f32 v6, s7, v10, v6
	flat_store_dword v[4:5], v6
	flat_load_dword v6, v[8:9] offset:4
	s_waitcnt vmcnt(0) lgkmcnt(0)
	v_fmac_f32_e32 v7, s7, v6
	flat_store_dword v[4:5], v7 offset:4
.LBB56_3:
	s_or_b64 exec, exec, s[2:3]
	s_bitcmp1_b32 s8, 0
	v_cmp_eq_u64_e32 vcc, s[0:1], v[2:3]
	s_cselect_b64 s[0:1], -1, 0
	s_and_b64 s[0:1], s[0:1], vcc
	s_and_saveexec_b64 s[2:3], s[0:1]
	s_cbranch_execz .LBB56_5
; %bb.4:
	v_mov_b32_e32 v3, s9
	v_add_co_u32_e32 v2, vcc, s6, v0
	v_addc_co_u32_e32 v3, vcc, v3, v1, vcc
	v_mov_b32_e32 v5, s5
	v_add_co_u32_e32 v0, vcc, s4, v0
	v_addc_co_u32_e32 v1, vcc, v5, v1, vcc
	flat_load_dword v4, v[2:3]
	s_nop 0
	flat_load_dword v0, v[0:1]
	s_waitcnt vmcnt(0) lgkmcnt(0)
	v_fmac_f32_e32 v4, s7, v0
	flat_store_dword v[2:3], v4
.LBB56_5:
	s_endpgm
	.section	.rodata,"a",@progbits
	.p2align	6, 0x0
	.amdhsa_kernel _ZL22rocblas_saxpy_2_kernelILi256EfPKfPKS1_PKPfEviT1_lT2_llT3_lli
		.amdhsa_group_segment_fixed_size 0
		.amdhsa_private_segment_fixed_size 0
		.amdhsa_kernarg_size 76
		.amdhsa_user_sgpr_count 6
		.amdhsa_user_sgpr_private_segment_buffer 1
		.amdhsa_user_sgpr_dispatch_ptr 0
		.amdhsa_user_sgpr_queue_ptr 0
		.amdhsa_user_sgpr_kernarg_segment_ptr 1
		.amdhsa_user_sgpr_dispatch_id 0
		.amdhsa_user_sgpr_flat_scratch_init 0
		.amdhsa_user_sgpr_private_segment_size 0
		.amdhsa_uses_dynamic_stack 0
		.amdhsa_system_sgpr_private_segment_wavefront_offset 0
		.amdhsa_system_sgpr_workgroup_id_x 1
		.amdhsa_system_sgpr_workgroup_id_y 0
		.amdhsa_system_sgpr_workgroup_id_z 1
		.amdhsa_system_sgpr_workgroup_info 0
		.amdhsa_system_vgpr_workitem_id 0
		.amdhsa_next_free_vgpr 11
		.amdhsa_next_free_sgpr 18
		.amdhsa_reserve_vcc 1
		.amdhsa_reserve_flat_scratch 0
		.amdhsa_float_round_mode_32 0
		.amdhsa_float_round_mode_16_64 0
		.amdhsa_float_denorm_mode_32 3
		.amdhsa_float_denorm_mode_16_64 3
		.amdhsa_dx10_clamp 1
		.amdhsa_ieee_mode 1
		.amdhsa_fp16_overflow 0
		.amdhsa_exception_fp_ieee_invalid_op 0
		.amdhsa_exception_fp_denorm_src 0
		.amdhsa_exception_fp_ieee_div_zero 0
		.amdhsa_exception_fp_ieee_overflow 0
		.amdhsa_exception_fp_ieee_underflow 0
		.amdhsa_exception_fp_ieee_inexact 0
		.amdhsa_exception_int_div_zero 0
	.end_amdhsa_kernel
	.section	.text._ZL22rocblas_saxpy_2_kernelILi256EfPKfPKS1_PKPfEviT1_lT2_llT3_lli,"axG",@progbits,_ZL22rocblas_saxpy_2_kernelILi256EfPKfPKS1_PKPfEviT1_lT2_llT3_lli,comdat
.Lfunc_end56:
	.size	_ZL22rocblas_saxpy_2_kernelILi256EfPKfPKS1_PKPfEviT1_lT2_llT3_lli, .Lfunc_end56-_ZL22rocblas_saxpy_2_kernelILi256EfPKfPKS1_PKPfEviT1_lT2_llT3_lli
                                        ; -- End function
	.set _ZL22rocblas_saxpy_2_kernelILi256EfPKfPKS1_PKPfEviT1_lT2_llT3_lli.num_vgpr, 11
	.set _ZL22rocblas_saxpy_2_kernelILi256EfPKfPKS1_PKPfEviT1_lT2_llT3_lli.num_agpr, 0
	.set _ZL22rocblas_saxpy_2_kernelILi256EfPKfPKS1_PKPfEviT1_lT2_llT3_lli.numbered_sgpr, 18
	.set _ZL22rocblas_saxpy_2_kernelILi256EfPKfPKS1_PKPfEviT1_lT2_llT3_lli.num_named_barrier, 0
	.set _ZL22rocblas_saxpy_2_kernelILi256EfPKfPKS1_PKPfEviT1_lT2_llT3_lli.private_seg_size, 0
	.set _ZL22rocblas_saxpy_2_kernelILi256EfPKfPKS1_PKPfEviT1_lT2_llT3_lli.uses_vcc, 1
	.set _ZL22rocblas_saxpy_2_kernelILi256EfPKfPKS1_PKPfEviT1_lT2_llT3_lli.uses_flat_scratch, 0
	.set _ZL22rocblas_saxpy_2_kernelILi256EfPKfPKS1_PKPfEviT1_lT2_llT3_lli.has_dyn_sized_stack, 0
	.set _ZL22rocblas_saxpy_2_kernelILi256EfPKfPKS1_PKPfEviT1_lT2_llT3_lli.has_recursion, 0
	.set _ZL22rocblas_saxpy_2_kernelILi256EfPKfPKS1_PKPfEviT1_lT2_llT3_lli.has_indirect_call, 0
	.section	.AMDGPU.csdata,"",@progbits
; Kernel info:
; codeLenInByte = 392
; TotalNumSgprs: 22
; NumVgprs: 11
; ScratchSize: 0
; MemoryBound: 0
; FloatMode: 240
; IeeeMode: 1
; LDSByteSize: 0 bytes/workgroup (compile time only)
; SGPRBlocks: 2
; VGPRBlocks: 2
; NumSGPRsForWavesPerEU: 22
; NumVGPRsForWavesPerEU: 11
; Occupancy: 10
; WaveLimiterHint : 1
; COMPUTE_PGM_RSRC2:SCRATCH_EN: 0
; COMPUTE_PGM_RSRC2:USER_SGPR: 6
; COMPUTE_PGM_RSRC2:TRAP_HANDLER: 0
; COMPUTE_PGM_RSRC2:TGID_X_EN: 1
; COMPUTE_PGM_RSRC2:TGID_Y_EN: 0
; COMPUTE_PGM_RSRC2:TGID_Z_EN: 1
; COMPUTE_PGM_RSRC2:TIDIG_COMP_CNT: 0
	.section	.text._ZL22rocblas_saxpy_2_kernelILi256EffPKPKfPKPfEviT1_lT2_llT3_lli,"axG",@progbits,_ZL22rocblas_saxpy_2_kernelILi256EffPKPKfPKPfEviT1_lT2_llT3_lli,comdat
	.globl	_ZL22rocblas_saxpy_2_kernelILi256EffPKPKfPKPfEviT1_lT2_llT3_lli ; -- Begin function _ZL22rocblas_saxpy_2_kernelILi256EffPKPKfPKPfEviT1_lT2_llT3_lli
	.p2align	8
	.type	_ZL22rocblas_saxpy_2_kernelILi256EffPKPKfPKPfEviT1_lT2_llT3_lli,@function
_ZL22rocblas_saxpy_2_kernelILi256EffPKPKfPKPfEviT1_lT2_llT3_lli: ; @_ZL22rocblas_saxpy_2_kernelILi256EffPKPKfPKPfEviT1_lT2_llT3_lli
; %bb.0:
	s_load_dwordx2 s[0:1], s[4:5], 0x0
	s_mov_b32 s3, 0
	s_waitcnt lgkmcnt(0)
	v_cmp_eq_f32_e64 s[8:9], s1, 0
	s_and_b64 vcc, exec, s[8:9]
	s_cbranch_vccnz .LBB57_5
; %bb.1:
	s_load_dwordx4 s[8:11], s[4:5], 0x10
	s_load_dwordx4 s[12:15], s[4:5], 0x28
	s_mov_b32 s2, s7
	s_lshl_b64 s[2:3], s[2:3], 3
	v_lshlrev_b32_e32 v0, 1, v0
	s_waitcnt lgkmcnt(0)
	s_add_u32 s4, s8, s2
	s_addc_u32 s5, s9, s3
	s_load_dwordx2 s[4:5], s[4:5], 0x0
	s_lshl_b64 s[8:9], s[10:11], 2
	v_lshl_or_b32 v2, s6, 9, v0
	v_mov_b32_e32 v3, 0
	v_lshlrev_b64 v[0:1], 2, v[2:3]
	s_waitcnt lgkmcnt(0)
	s_add_u32 s7, s4, s8
	s_addc_u32 s8, s5, s9
	s_add_u32 s2, s12, s2
	s_addc_u32 s3, s13, s3
	s_load_dwordx2 s[2:3], s[2:3], 0x0
	s_lshl_b64 s[4:5], s[14:15], 2
	s_waitcnt lgkmcnt(0)
	s_add_u32 s6, s2, s4
	s_addc_u32 s9, s3, s5
	s_add_i32 s2, s0, -1
	s_ashr_i32 s3, s2, 31
	v_cmp_gt_i64_e32 vcc, s[2:3], v[2:3]
	s_and_saveexec_b64 s[4:5], vcc
	s_cbranch_execz .LBB57_3
; %bb.2:
	v_mov_b32_e32 v5, s9
	v_add_co_u32_e32 v4, vcc, s6, v0
	v_addc_co_u32_e32 v5, vcc, v5, v1, vcc
	v_mov_b32_e32 v9, s8
	v_add_co_u32_e32 v8, vcc, s7, v0
	v_addc_co_u32_e32 v9, vcc, v9, v1, vcc
	flat_load_dwordx2 v[6:7], v[4:5]
	flat_load_dword v10, v[8:9]
	s_waitcnt vmcnt(0) lgkmcnt(0)
	v_fma_f32 v6, s1, v10, v6
	flat_store_dword v[4:5], v6
	flat_load_dword v6, v[8:9] offset:4
	s_waitcnt vmcnt(0) lgkmcnt(0)
	v_fmac_f32_e32 v7, s1, v6
	flat_store_dword v[4:5], v7 offset:4
.LBB57_3:
	s_or_b64 exec, exec, s[4:5]
	s_bitcmp1_b32 s0, 0
	v_cmp_eq_u64_e32 vcc, s[2:3], v[2:3]
	s_cselect_b64 s[2:3], -1, 0
	s_and_b64 s[2:3], s[2:3], vcc
	s_and_saveexec_b64 s[4:5], s[2:3]
	s_cbranch_execz .LBB57_5
; %bb.4:
	v_mov_b32_e32 v3, s9
	v_add_co_u32_e32 v2, vcc, s6, v0
	v_addc_co_u32_e32 v3, vcc, v3, v1, vcc
	v_mov_b32_e32 v5, s8
	v_add_co_u32_e32 v0, vcc, s7, v0
	v_addc_co_u32_e32 v1, vcc, v5, v1, vcc
	flat_load_dword v4, v[2:3]
	s_nop 0
	flat_load_dword v0, v[0:1]
	s_waitcnt vmcnt(0) lgkmcnt(0)
	v_fmac_f32_e32 v4, s1, v0
	flat_store_dword v[2:3], v4
.LBB57_5:
	s_endpgm
	.section	.rodata,"a",@progbits
	.p2align	6, 0x0
	.amdhsa_kernel _ZL22rocblas_saxpy_2_kernelILi256EffPKPKfPKPfEviT1_lT2_llT3_lli
		.amdhsa_group_segment_fixed_size 0
		.amdhsa_private_segment_fixed_size 0
		.amdhsa_kernarg_size 68
		.amdhsa_user_sgpr_count 6
		.amdhsa_user_sgpr_private_segment_buffer 1
		.amdhsa_user_sgpr_dispatch_ptr 0
		.amdhsa_user_sgpr_queue_ptr 0
		.amdhsa_user_sgpr_kernarg_segment_ptr 1
		.amdhsa_user_sgpr_dispatch_id 0
		.amdhsa_user_sgpr_flat_scratch_init 0
		.amdhsa_user_sgpr_private_segment_size 0
		.amdhsa_uses_dynamic_stack 0
		.amdhsa_system_sgpr_private_segment_wavefront_offset 0
		.amdhsa_system_sgpr_workgroup_id_x 1
		.amdhsa_system_sgpr_workgroup_id_y 0
		.amdhsa_system_sgpr_workgroup_id_z 1
		.amdhsa_system_sgpr_workgroup_info 0
		.amdhsa_system_vgpr_workitem_id 0
		.amdhsa_next_free_vgpr 11
		.amdhsa_next_free_sgpr 16
		.amdhsa_reserve_vcc 1
		.amdhsa_reserve_flat_scratch 0
		.amdhsa_float_round_mode_32 0
		.amdhsa_float_round_mode_16_64 0
		.amdhsa_float_denorm_mode_32 3
		.amdhsa_float_denorm_mode_16_64 3
		.amdhsa_dx10_clamp 1
		.amdhsa_ieee_mode 1
		.amdhsa_fp16_overflow 0
		.amdhsa_exception_fp_ieee_invalid_op 0
		.amdhsa_exception_fp_denorm_src 0
		.amdhsa_exception_fp_ieee_div_zero 0
		.amdhsa_exception_fp_ieee_overflow 0
		.amdhsa_exception_fp_ieee_underflow 0
		.amdhsa_exception_fp_ieee_inexact 0
		.amdhsa_exception_int_div_zero 0
	.end_amdhsa_kernel
	.section	.text._ZL22rocblas_saxpy_2_kernelILi256EffPKPKfPKPfEviT1_lT2_llT3_lli,"axG",@progbits,_ZL22rocblas_saxpy_2_kernelILi256EffPKPKfPKPfEviT1_lT2_llT3_lli,comdat
.Lfunc_end57:
	.size	_ZL22rocblas_saxpy_2_kernelILi256EffPKPKfPKPfEviT1_lT2_llT3_lli, .Lfunc_end57-_ZL22rocblas_saxpy_2_kernelILi256EffPKPKfPKPfEviT1_lT2_llT3_lli
                                        ; -- End function
	.set _ZL22rocblas_saxpy_2_kernelILi256EffPKPKfPKPfEviT1_lT2_llT3_lli.num_vgpr, 11
	.set _ZL22rocblas_saxpy_2_kernelILi256EffPKPKfPKPfEviT1_lT2_llT3_lli.num_agpr, 0
	.set _ZL22rocblas_saxpy_2_kernelILi256EffPKPKfPKPfEviT1_lT2_llT3_lli.numbered_sgpr, 16
	.set _ZL22rocblas_saxpy_2_kernelILi256EffPKPKfPKPfEviT1_lT2_llT3_lli.num_named_barrier, 0
	.set _ZL22rocblas_saxpy_2_kernelILi256EffPKPKfPKPfEviT1_lT2_llT3_lli.private_seg_size, 0
	.set _ZL22rocblas_saxpy_2_kernelILi256EffPKPKfPKPfEviT1_lT2_llT3_lli.uses_vcc, 1
	.set _ZL22rocblas_saxpy_2_kernelILi256EffPKPKfPKPfEviT1_lT2_llT3_lli.uses_flat_scratch, 0
	.set _ZL22rocblas_saxpy_2_kernelILi256EffPKPKfPKPfEviT1_lT2_llT3_lli.has_dyn_sized_stack, 0
	.set _ZL22rocblas_saxpy_2_kernelILi256EffPKPKfPKPfEviT1_lT2_llT3_lli.has_recursion, 0
	.set _ZL22rocblas_saxpy_2_kernelILi256EffPKPKfPKPfEviT1_lT2_llT3_lli.has_indirect_call, 0
	.section	.AMDGPU.csdata,"",@progbits
; Kernel info:
; codeLenInByte = 344
; TotalNumSgprs: 20
; NumVgprs: 11
; ScratchSize: 0
; MemoryBound: 0
; FloatMode: 240
; IeeeMode: 1
; LDSByteSize: 0 bytes/workgroup (compile time only)
; SGPRBlocks: 2
; VGPRBlocks: 2
; NumSGPRsForWavesPerEU: 20
; NumVGPRsForWavesPerEU: 11
; Occupancy: 10
; WaveLimiterHint : 1
; COMPUTE_PGM_RSRC2:SCRATCH_EN: 0
; COMPUTE_PGM_RSRC2:USER_SGPR: 6
; COMPUTE_PGM_RSRC2:TRAP_HANDLER: 0
; COMPUTE_PGM_RSRC2:TGID_X_EN: 1
; COMPUTE_PGM_RSRC2:TGID_Y_EN: 0
; COMPUTE_PGM_RSRC2:TGID_Z_EN: 1
; COMPUTE_PGM_RSRC2:TIDIG_COMP_CNT: 0
	.section	.text._ZL27rocblas_axpy_kernel_batchedIiLi128ELi8EfPKfPKS1_PKPfEviT3_lT4_lT_lT5_lS9_li,"axG",@progbits,_ZL27rocblas_axpy_kernel_batchedIiLi128ELi8EfPKfPKS1_PKPfEviT3_lT4_lT_lT5_lS9_li,comdat
	.globl	_ZL27rocblas_axpy_kernel_batchedIiLi128ELi8EfPKfPKS1_PKPfEviT3_lT4_lT_lT5_lS9_li ; -- Begin function _ZL27rocblas_axpy_kernel_batchedIiLi128ELi8EfPKfPKS1_PKPfEviT3_lT4_lT_lT5_lS9_li
	.p2align	8
	.type	_ZL27rocblas_axpy_kernel_batchedIiLi128ELi8EfPKfPKS1_PKPfEviT3_lT4_lT_lT5_lS9_li,@function
_ZL27rocblas_axpy_kernel_batchedIiLi128ELi8EfPKfPKS1_PKPfEviT3_lT4_lT_lT5_lS9_li: ; @_ZL27rocblas_axpy_kernel_batchedIiLi128ELi8EfPKfPKS1_PKPfEviT3_lT4_lT_lT5_lS9_li
; %bb.0:
	s_load_dword s0, s[4:5], 0x0
	v_lshl_add_u32 v6, s6, 7, v0
	v_mov_b32_e32 v7, 0
	s_waitcnt lgkmcnt(0)
	s_ashr_i32 s1, s0, 31
	v_cmp_gt_i64_e32 vcc, s[0:1], v[6:7]
	s_and_saveexec_b64 s[0:1], vcc
	s_cbranch_execz .LBB58_13
; %bb.1:
	s_load_dword s16, s[4:5], 0x28
	s_load_dwordx8 s[8:15], s[4:5], 0x8
	s_load_dwordx4 s[0:3], s[4:5], 0x38
	s_load_dword s17, s[4:5], 0x48
	s_load_dword s6, s[4:5], 0x58
	s_waitcnt lgkmcnt(0)
	v_mad_u64_u32 v[2:3], s[4:5], s16, v6, 0
	s_ashr_i32 s18, s16, 31
	v_mad_u64_u32 v[4:5], s[4:5], s17, v6, 0
	v_mov_b32_e32 v0, v3
	s_ashr_i32 s16, s17, 31
	v_mad_u64_u32 v[7:8], s[4:5], s18, v6, v[0:1]
	v_mov_b32_e32 v0, v5
	v_mad_u64_u32 v[5:6], s[4:5], s16, v6, v[0:1]
	v_lshlrev_b32_e32 v0, 2, v1
	v_lshl_add_u32 v0, s7, 5, v0
	v_mov_b32_e32 v3, v7
	v_cmp_gt_u32_e32 vcc, s6, v0
	s_and_saveexec_b64 s[4:5], vcc
	s_cbranch_execz .LBB58_4
; %bb.2:
	v_mad_u64_u32 v[6:7], s[16:17], s10, v0, 0
	v_mov_b32_e32 v1, v7
	v_mad_u64_u32 v[7:8], s[16:17], s11, v0, v[1:2]
	v_mov_b32_e32 v1, s9
	v_lshlrev_b64 v[6:7], 2, v[6:7]
	v_add_co_u32_e32 v6, vcc, s8, v6
	v_addc_co_u32_e32 v7, vcc, v1, v7, vcc
	global_load_dword v6, v[6:7], off
	s_waitcnt vmcnt(0)
	v_cmp_neq_f32_e32 vcc, 0, v6
	s_and_b64 exec, exec, vcc
	s_cbranch_execz .LBB58_4
; %bb.3:
	v_mov_b32_e32 v1, 0
	v_lshlrev_b64 v[7:8], 3, v[0:1]
	v_mov_b32_e32 v1, s13
	v_add_co_u32_e32 v9, vcc, s12, v7
	v_addc_co_u32_e32 v10, vcc, v1, v8, vcc
	global_load_dwordx2 v[9:10], v[9:10], off
	v_mov_b32_e32 v1, s1
	v_add_co_u32_e32 v7, vcc, s0, v7
	v_addc_co_u32_e32 v8, vcc, v1, v8, vcc
	global_load_dwordx2 v[7:8], v[7:8], off
	s_lshl_b64 s[16:17], s[14:15], 2
	v_mov_b32_e32 v1, s17
	s_lshl_b64 s[18:19], s[2:3], 2
	v_lshlrev_b64 v[11:12], 2, v[2:3]
	v_mov_b32_e32 v15, s19
	v_lshlrev_b64 v[13:14], 2, v[4:5]
	s_waitcnt vmcnt(1)
	v_add_co_u32_e32 v9, vcc, s16, v9
	v_addc_co_u32_e32 v1, vcc, v10, v1, vcc
	s_waitcnt vmcnt(0)
	v_add_co_u32_e32 v10, vcc, s18, v7
	v_addc_co_u32_e32 v15, vcc, v8, v15, vcc
	v_add_co_u32_e32 v7, vcc, v9, v11
	v_addc_co_u32_e32 v8, vcc, v1, v12, vcc
	;; [unrolled: 2-line block ×3, first 2 shown]
	flat_load_dword v1, v[9:10]
	flat_load_dword v11, v[7:8]
	s_waitcnt vmcnt(0) lgkmcnt(0)
	v_fmac_f32_e32 v1, v6, v11
	flat_store_dword v[9:10], v1
.LBB58_4:
	s_or_b64 exec, exec, s[4:5]
	v_or_b32_e32 v1, 1, v0
	v_cmp_gt_u32_e32 vcc, s6, v1
	s_and_saveexec_b64 s[4:5], vcc
	s_cbranch_execz .LBB58_7
; %bb.5:
	v_mad_u64_u32 v[6:7], s[16:17], s10, v1, 0
	v_mad_u64_u32 v[7:8], s[16:17], s11, v1, v[7:8]
	v_mov_b32_e32 v1, s9
	v_lshlrev_b64 v[6:7], 2, v[6:7]
	v_add_co_u32_e32 v6, vcc, s8, v6
	v_addc_co_u32_e32 v7, vcc, v1, v7, vcc
	global_load_dword v6, v[6:7], off
	s_waitcnt vmcnt(0)
	v_cmp_neq_f32_e32 vcc, 0, v6
	s_and_b64 exec, exec, vcc
	s_cbranch_execz .LBB58_7
; %bb.6:
	v_mov_b32_e32 v1, 0
	v_lshlrev_b64 v[7:8], 3, v[0:1]
	v_mov_b32_e32 v1, s13
	v_add_co_u32_e32 v9, vcc, s12, v7
	v_addc_co_u32_e32 v10, vcc, v1, v8, vcc
	global_load_dwordx2 v[9:10], v[9:10], off offset:8
	v_mov_b32_e32 v1, s1
	v_add_co_u32_e32 v7, vcc, s0, v7
	v_addc_co_u32_e32 v8, vcc, v1, v8, vcc
	global_load_dwordx2 v[7:8], v[7:8], off offset:8
	s_lshl_b64 s[16:17], s[14:15], 2
	v_mov_b32_e32 v1, s17
	s_lshl_b64 s[18:19], s[2:3], 2
	v_lshlrev_b64 v[11:12], 2, v[2:3]
	v_mov_b32_e32 v15, s19
	v_lshlrev_b64 v[13:14], 2, v[4:5]
	s_waitcnt vmcnt(0)
	v_add_co_u32_e32 v9, vcc, s16, v9
	v_addc_co_u32_e32 v1, vcc, v10, v1, vcc
	v_add_co_u32_e32 v10, vcc, s18, v7
	v_addc_co_u32_e32 v15, vcc, v8, v15, vcc
	;; [unrolled: 2-line block ×4, first 2 shown]
	flat_load_dword v1, v[9:10]
	flat_load_dword v11, v[7:8]
	s_waitcnt vmcnt(0) lgkmcnt(0)
	v_fmac_f32_e32 v1, v6, v11
	flat_store_dword v[9:10], v1
.LBB58_7:
	s_or_b64 exec, exec, s[4:5]
	v_or_b32_e32 v1, 2, v0
	v_cmp_gt_u32_e32 vcc, s6, v1
	s_and_saveexec_b64 s[4:5], vcc
	s_cbranch_execz .LBB58_10
; %bb.8:
	v_mad_u64_u32 v[6:7], s[16:17], s10, v1, 0
	v_mad_u64_u32 v[7:8], s[16:17], s11, v1, v[7:8]
	v_mov_b32_e32 v1, s9
	v_lshlrev_b64 v[6:7], 2, v[6:7]
	v_add_co_u32_e32 v6, vcc, s8, v6
	v_addc_co_u32_e32 v7, vcc, v1, v7, vcc
	global_load_dword v6, v[6:7], off
	s_waitcnt vmcnt(0)
	v_cmp_neq_f32_e32 vcc, 0, v6
	s_and_b64 exec, exec, vcc
	s_cbranch_execz .LBB58_10
; %bb.9:
	v_mov_b32_e32 v1, 0
	v_lshlrev_b64 v[7:8], 3, v[0:1]
	v_mov_b32_e32 v1, s13
	v_add_co_u32_e32 v9, vcc, s12, v7
	v_addc_co_u32_e32 v10, vcc, v1, v8, vcc
	global_load_dwordx2 v[9:10], v[9:10], off offset:16
	v_mov_b32_e32 v1, s1
	v_add_co_u32_e32 v7, vcc, s0, v7
	v_addc_co_u32_e32 v8, vcc, v1, v8, vcc
	global_load_dwordx2 v[7:8], v[7:8], off offset:16
	s_lshl_b64 s[16:17], s[14:15], 2
	v_mov_b32_e32 v1, s17
	s_lshl_b64 s[18:19], s[2:3], 2
	v_lshlrev_b64 v[11:12], 2, v[2:3]
	v_mov_b32_e32 v15, s19
	v_lshlrev_b64 v[13:14], 2, v[4:5]
	s_waitcnt vmcnt(0)
	v_add_co_u32_e32 v9, vcc, s16, v9
	v_addc_co_u32_e32 v1, vcc, v10, v1, vcc
	v_add_co_u32_e32 v10, vcc, s18, v7
	v_addc_co_u32_e32 v15, vcc, v8, v15, vcc
	v_add_co_u32_e32 v7, vcc, v9, v11
	v_addc_co_u32_e32 v8, vcc, v1, v12, vcc
	v_add_co_u32_e32 v9, vcc, v10, v13
	v_addc_co_u32_e32 v10, vcc, v15, v14, vcc
	flat_load_dword v1, v[9:10]
	flat_load_dword v11, v[7:8]
	s_waitcnt vmcnt(0) lgkmcnt(0)
	v_fmac_f32_e32 v1, v6, v11
	flat_store_dword v[9:10], v1
.LBB58_10:
	s_or_b64 exec, exec, s[4:5]
	v_or_b32_e32 v1, 3, v0
	v_cmp_gt_u32_e32 vcc, s6, v1
	s_and_b64 exec, exec, vcc
	s_cbranch_execz .LBB58_13
; %bb.11:
	v_mad_u64_u32 v[6:7], s[4:5], s10, v1, 0
	v_mad_u64_u32 v[7:8], s[4:5], s11, v1, v[7:8]
	v_mov_b32_e32 v1, s9
	v_lshlrev_b64 v[6:7], 2, v[6:7]
	v_add_co_u32_e32 v6, vcc, s8, v6
	v_addc_co_u32_e32 v7, vcc, v1, v7, vcc
	global_load_dword v6, v[6:7], off
	s_waitcnt vmcnt(0)
	v_cmp_neq_f32_e32 vcc, 0, v6
	s_and_b64 exec, exec, vcc
	s_cbranch_execz .LBB58_13
; %bb.12:
	v_mov_b32_e32 v1, 0
	v_lshlrev_b64 v[0:1], 3, v[0:1]
	v_mov_b32_e32 v8, s13
	v_add_co_u32_e32 v7, vcc, s12, v0
	v_addc_co_u32_e32 v8, vcc, v8, v1, vcc
	global_load_dwordx2 v[7:8], v[7:8], off offset:24
	v_mov_b32_e32 v9, s1
	v_add_co_u32_e32 v0, vcc, s0, v0
	v_addc_co_u32_e32 v1, vcc, v9, v1, vcc
	global_load_dwordx2 v[0:1], v[0:1], off offset:24
	s_lshl_b64 s[0:1], s[14:15], 2
	v_mov_b32_e32 v9, s1
	s_lshl_b64 s[2:3], s[2:3], 2
	v_lshlrev_b64 v[2:3], 2, v[2:3]
	v_mov_b32_e32 v10, s3
	v_lshlrev_b64 v[4:5], 2, v[4:5]
	s_waitcnt vmcnt(0)
	v_add_co_u32_e32 v7, vcc, s0, v7
	v_addc_co_u32_e32 v8, vcc, v8, v9, vcc
	v_add_co_u32_e32 v9, vcc, s2, v0
	v_addc_co_u32_e32 v10, vcc, v1, v10, vcc
	;; [unrolled: 2-line block ×4, first 2 shown]
	flat_load_dword v4, v[2:3]
	flat_load_dword v5, v[0:1]
	s_waitcnt vmcnt(0) lgkmcnt(0)
	v_fmac_f32_e32 v4, v6, v5
	flat_store_dword v[2:3], v4
.LBB58_13:
	s_endpgm
	.section	.rodata,"a",@progbits
	.p2align	6, 0x0
	.amdhsa_kernel _ZL27rocblas_axpy_kernel_batchedIiLi128ELi8EfPKfPKS1_PKPfEviT3_lT4_lT_lT5_lS9_li
		.amdhsa_group_segment_fixed_size 0
		.amdhsa_private_segment_fixed_size 0
		.amdhsa_kernarg_size 92
		.amdhsa_user_sgpr_count 6
		.amdhsa_user_sgpr_private_segment_buffer 1
		.amdhsa_user_sgpr_dispatch_ptr 0
		.amdhsa_user_sgpr_queue_ptr 0
		.amdhsa_user_sgpr_kernarg_segment_ptr 1
		.amdhsa_user_sgpr_dispatch_id 0
		.amdhsa_user_sgpr_flat_scratch_init 0
		.amdhsa_user_sgpr_private_segment_size 0
		.amdhsa_uses_dynamic_stack 0
		.amdhsa_system_sgpr_private_segment_wavefront_offset 0
		.amdhsa_system_sgpr_workgroup_id_x 1
		.amdhsa_system_sgpr_workgroup_id_y 0
		.amdhsa_system_sgpr_workgroup_id_z 1
		.amdhsa_system_sgpr_workgroup_info 0
		.amdhsa_system_vgpr_workitem_id 1
		.amdhsa_next_free_vgpr 16
		.amdhsa_next_free_sgpr 20
		.amdhsa_reserve_vcc 1
		.amdhsa_reserve_flat_scratch 0
		.amdhsa_float_round_mode_32 0
		.amdhsa_float_round_mode_16_64 0
		.amdhsa_float_denorm_mode_32 3
		.amdhsa_float_denorm_mode_16_64 3
		.amdhsa_dx10_clamp 1
		.amdhsa_ieee_mode 1
		.amdhsa_fp16_overflow 0
		.amdhsa_exception_fp_ieee_invalid_op 0
		.amdhsa_exception_fp_denorm_src 0
		.amdhsa_exception_fp_ieee_div_zero 0
		.amdhsa_exception_fp_ieee_overflow 0
		.amdhsa_exception_fp_ieee_underflow 0
		.amdhsa_exception_fp_ieee_inexact 0
		.amdhsa_exception_int_div_zero 0
	.end_amdhsa_kernel
	.section	.text._ZL27rocblas_axpy_kernel_batchedIiLi128ELi8EfPKfPKS1_PKPfEviT3_lT4_lT_lT5_lS9_li,"axG",@progbits,_ZL27rocblas_axpy_kernel_batchedIiLi128ELi8EfPKfPKS1_PKPfEviT3_lT4_lT_lT5_lS9_li,comdat
.Lfunc_end58:
	.size	_ZL27rocblas_axpy_kernel_batchedIiLi128ELi8EfPKfPKS1_PKPfEviT3_lT4_lT_lT5_lS9_li, .Lfunc_end58-_ZL27rocblas_axpy_kernel_batchedIiLi128ELi8EfPKfPKS1_PKPfEviT3_lT4_lT_lT5_lS9_li
                                        ; -- End function
	.set _ZL27rocblas_axpy_kernel_batchedIiLi128ELi8EfPKfPKS1_PKPfEviT3_lT4_lT_lT5_lS9_li.num_vgpr, 16
	.set _ZL27rocblas_axpy_kernel_batchedIiLi128ELi8EfPKfPKS1_PKPfEviT3_lT4_lT_lT5_lS9_li.num_agpr, 0
	.set _ZL27rocblas_axpy_kernel_batchedIiLi128ELi8EfPKfPKS1_PKPfEviT3_lT4_lT_lT5_lS9_li.numbered_sgpr, 20
	.set _ZL27rocblas_axpy_kernel_batchedIiLi128ELi8EfPKfPKS1_PKPfEviT3_lT4_lT_lT5_lS9_li.num_named_barrier, 0
	.set _ZL27rocblas_axpy_kernel_batchedIiLi128ELi8EfPKfPKS1_PKPfEviT3_lT4_lT_lT5_lS9_li.private_seg_size, 0
	.set _ZL27rocblas_axpy_kernel_batchedIiLi128ELi8EfPKfPKS1_PKPfEviT3_lT4_lT_lT5_lS9_li.uses_vcc, 1
	.set _ZL27rocblas_axpy_kernel_batchedIiLi128ELi8EfPKfPKS1_PKPfEviT3_lT4_lT_lT5_lS9_li.uses_flat_scratch, 0
	.set _ZL27rocblas_axpy_kernel_batchedIiLi128ELi8EfPKfPKS1_PKPfEviT3_lT4_lT_lT5_lS9_li.has_dyn_sized_stack, 0
	.set _ZL27rocblas_axpy_kernel_batchedIiLi128ELi8EfPKfPKS1_PKPfEviT3_lT4_lT_lT5_lS9_li.has_recursion, 0
	.set _ZL27rocblas_axpy_kernel_batchedIiLi128ELi8EfPKfPKS1_PKPfEviT3_lT4_lT_lT5_lS9_li.has_indirect_call, 0
	.section	.AMDGPU.csdata,"",@progbits
; Kernel info:
; codeLenInByte = 1080
; TotalNumSgprs: 24
; NumVgprs: 16
; ScratchSize: 0
; MemoryBound: 0
; FloatMode: 240
; IeeeMode: 1
; LDSByteSize: 0 bytes/workgroup (compile time only)
; SGPRBlocks: 2
; VGPRBlocks: 3
; NumSGPRsForWavesPerEU: 24
; NumVGPRsForWavesPerEU: 16
; Occupancy: 10
; WaveLimiterHint : 1
; COMPUTE_PGM_RSRC2:SCRATCH_EN: 0
; COMPUTE_PGM_RSRC2:USER_SGPR: 6
; COMPUTE_PGM_RSRC2:TRAP_HANDLER: 0
; COMPUTE_PGM_RSRC2:TGID_X_EN: 1
; COMPUTE_PGM_RSRC2:TGID_Y_EN: 0
; COMPUTE_PGM_RSRC2:TGID_Z_EN: 1
; COMPUTE_PGM_RSRC2:TIDIG_COMP_CNT: 1
	.section	.text._ZL27rocblas_axpy_kernel_batchedIiLi128ELi8EffPKPKfPKPfEviT3_lT4_lT_lT5_lS9_li,"axG",@progbits,_ZL27rocblas_axpy_kernel_batchedIiLi128ELi8EffPKPKfPKPfEviT3_lT4_lT_lT5_lS9_li,comdat
	.globl	_ZL27rocblas_axpy_kernel_batchedIiLi128ELi8EffPKPKfPKPfEviT3_lT4_lT_lT5_lS9_li ; -- Begin function _ZL27rocblas_axpy_kernel_batchedIiLi128ELi8EffPKPKfPKPfEviT3_lT4_lT_lT5_lS9_li
	.p2align	8
	.type	_ZL27rocblas_axpy_kernel_batchedIiLi128ELi8EffPKPKfPKPfEviT3_lT4_lT_lT5_lS9_li,@function
_ZL27rocblas_axpy_kernel_batchedIiLi128ELi8EffPKPKfPKPfEviT3_lT4_lT_lT5_lS9_li: ; @_ZL27rocblas_axpy_kernel_batchedIiLi128ELi8EffPKPKfPKPfEviT3_lT4_lT_lT5_lS9_li
; %bb.0:
	s_load_dwordx2 s[12:13], s[4:5], 0x0
	v_lshl_add_u32 v2, s6, 7, v0
	v_mov_b32_e32 v3, 0
	s_waitcnt lgkmcnt(0)
	s_ashr_i32 s1, s12, 31
	s_mov_b32 s0, s12
	v_cmp_gt_i64_e32 vcc, s[0:1], v[2:3]
	s_and_saveexec_b64 s[0:1], vcc
	s_cbranch_execz .LBB59_9
; %bb.1:
	s_load_dword s6, s[4:5], 0x20
	s_load_dwordx4 s[0:3], s[4:5], 0x10
	s_load_dwordx4 s[8:11], s[4:5], 0x30
	s_load_dword s14, s[4:5], 0x40
	s_load_dword s12, s[4:5], 0x50
	s_waitcnt lgkmcnt(0)
	v_mad_u64_u32 v[5:6], s[4:5], s6, v2, 0
	s_ashr_i32 s15, s6, 31
	v_mad_u64_u32 v[7:8], s[4:5], s14, v2, 0
	v_mov_b32_e32 v0, v6
	s_ashr_i32 s6, s14, 31
	v_mad_u64_u32 v[3:4], s[4:5], s15, v2, v[0:1]
	v_mov_b32_e32 v0, v8
	v_mad_u64_u32 v[8:9], s[4:5], s6, v2, v[0:1]
	v_lshlrev_b32_e32 v0, 2, v1
	v_lshl_add_u32 v4, s7, 5, v0
	v_mov_b32_e32 v6, v3
	v_cmp_neq_f32_e64 s[4:5], s13, 0
	v_cmp_gt_u32_e32 vcc, s12, v4
	v_lshlrev_b64 v[2:3], 2, v[5:6]
	v_lshlrev_b64 v[0:1], 2, v[7:8]
	s_and_b64 s[14:15], s[4:5], vcc
	s_and_saveexec_b64 s[6:7], s[14:15]
	s_cbranch_execz .LBB59_3
; %bb.2:
	v_mov_b32_e32 v5, 0
	v_lshlrev_b64 v[5:6], 3, v[4:5]
	v_mov_b32_e32 v8, s1
	v_add_co_u32_e32 v7, vcc, s0, v5
	v_addc_co_u32_e32 v8, vcc, v8, v6, vcc
	global_load_dwordx2 v[7:8], v[7:8], off
	v_mov_b32_e32 v9, s9
	v_add_co_u32_e32 v5, vcc, s8, v5
	v_addc_co_u32_e32 v6, vcc, v9, v6, vcc
	global_load_dwordx2 v[5:6], v[5:6], off
	s_lshl_b64 s[14:15], s[2:3], 2
	v_mov_b32_e32 v9, s15
	s_lshl_b64 s[16:17], s[10:11], 2
	v_mov_b32_e32 v10, s17
	s_waitcnt vmcnt(1)
	v_add_co_u32_e32 v7, vcc, s14, v7
	v_addc_co_u32_e32 v8, vcc, v8, v9, vcc
	s_waitcnt vmcnt(0)
	v_add_co_u32_e32 v9, vcc, s16, v5
	v_addc_co_u32_e32 v10, vcc, v6, v10, vcc
	v_add_co_u32_e32 v5, vcc, v7, v2
	v_addc_co_u32_e32 v6, vcc, v8, v3, vcc
	;; [unrolled: 2-line block ×3, first 2 shown]
	flat_load_dword v9, v[7:8]
	flat_load_dword v10, v[5:6]
	s_waitcnt vmcnt(0) lgkmcnt(0)
	v_fmac_f32_e32 v9, s13, v10
	flat_store_dword v[7:8], v9
.LBB59_3:
	s_or_b64 exec, exec, s[6:7]
	v_or_b32_e32 v5, 1, v4
	v_cmp_gt_u32_e32 vcc, s12, v5
	s_and_b64 s[14:15], s[4:5], vcc
	s_and_saveexec_b64 s[6:7], s[14:15]
	s_cbranch_execz .LBB59_5
; %bb.4:
	v_mov_b32_e32 v5, 0
	v_lshlrev_b64 v[5:6], 3, v[4:5]
	v_mov_b32_e32 v8, s1
	v_add_co_u32_e32 v7, vcc, s0, v5
	v_addc_co_u32_e32 v8, vcc, v8, v6, vcc
	global_load_dwordx2 v[7:8], v[7:8], off offset:8
	v_mov_b32_e32 v9, s9
	v_add_co_u32_e32 v5, vcc, s8, v5
	v_addc_co_u32_e32 v6, vcc, v9, v6, vcc
	global_load_dwordx2 v[5:6], v[5:6], off offset:8
	s_lshl_b64 s[14:15], s[2:3], 2
	v_mov_b32_e32 v9, s15
	s_lshl_b64 s[16:17], s[10:11], 2
	v_mov_b32_e32 v10, s17
	s_waitcnt vmcnt(0)
	v_add_co_u32_e32 v7, vcc, s14, v7
	v_addc_co_u32_e32 v8, vcc, v8, v9, vcc
	v_add_co_u32_e32 v9, vcc, s16, v5
	v_addc_co_u32_e32 v10, vcc, v6, v10, vcc
	;; [unrolled: 2-line block ×4, first 2 shown]
	flat_load_dword v9, v[7:8]
	flat_load_dword v10, v[5:6]
	s_waitcnt vmcnt(0) lgkmcnt(0)
	v_fmac_f32_e32 v9, s13, v10
	flat_store_dword v[7:8], v9
.LBB59_5:
	s_or_b64 exec, exec, s[6:7]
	v_or_b32_e32 v5, 2, v4
	v_cmp_gt_u32_e32 vcc, s12, v5
	s_and_b64 s[14:15], s[4:5], vcc
	s_and_saveexec_b64 s[6:7], s[14:15]
	s_cbranch_execz .LBB59_7
; %bb.6:
	v_mov_b32_e32 v5, 0
	v_lshlrev_b64 v[5:6], 3, v[4:5]
	v_mov_b32_e32 v8, s1
	v_add_co_u32_e32 v7, vcc, s0, v5
	v_addc_co_u32_e32 v8, vcc, v8, v6, vcc
	global_load_dwordx2 v[7:8], v[7:8], off offset:16
	v_mov_b32_e32 v9, s9
	v_add_co_u32_e32 v5, vcc, s8, v5
	v_addc_co_u32_e32 v6, vcc, v9, v6, vcc
	global_load_dwordx2 v[5:6], v[5:6], off offset:16
	s_lshl_b64 s[14:15], s[2:3], 2
	v_mov_b32_e32 v9, s15
	s_lshl_b64 s[16:17], s[10:11], 2
	v_mov_b32_e32 v10, s17
	s_waitcnt vmcnt(0)
	v_add_co_u32_e32 v7, vcc, s14, v7
	v_addc_co_u32_e32 v8, vcc, v8, v9, vcc
	v_add_co_u32_e32 v9, vcc, s16, v5
	v_addc_co_u32_e32 v10, vcc, v6, v10, vcc
	;; [unrolled: 2-line block ×4, first 2 shown]
	flat_load_dword v9, v[7:8]
	flat_load_dword v10, v[5:6]
	s_waitcnt vmcnt(0) lgkmcnt(0)
	v_fmac_f32_e32 v9, s13, v10
	flat_store_dword v[7:8], v9
.LBB59_7:
	s_or_b64 exec, exec, s[6:7]
	v_or_b32_e32 v5, 3, v4
	v_cmp_gt_u32_e32 vcc, s12, v5
	s_and_b64 s[4:5], s[4:5], vcc
	s_and_b64 exec, exec, s[4:5]
	s_cbranch_execz .LBB59_9
; %bb.8:
	v_mov_b32_e32 v5, 0
	v_lshlrev_b64 v[4:5], 3, v[4:5]
	v_mov_b32_e32 v7, s1
	v_add_co_u32_e32 v6, vcc, s0, v4
	v_addc_co_u32_e32 v7, vcc, v7, v5, vcc
	global_load_dwordx2 v[6:7], v[6:7], off offset:24
	v_mov_b32_e32 v8, s9
	v_add_co_u32_e32 v4, vcc, s8, v4
	v_addc_co_u32_e32 v5, vcc, v8, v5, vcc
	global_load_dwordx2 v[4:5], v[4:5], off offset:24
	s_lshl_b64 s[0:1], s[2:3], 2
	v_mov_b32_e32 v8, s1
	s_lshl_b64 s[2:3], s[10:11], 2
	v_mov_b32_e32 v9, s3
	s_waitcnt vmcnt(0)
	v_add_co_u32_e32 v6, vcc, s0, v6
	v_addc_co_u32_e32 v7, vcc, v7, v8, vcc
	v_add_co_u32_e32 v4, vcc, s2, v4
	v_addc_co_u32_e32 v5, vcc, v5, v9, vcc
	;; [unrolled: 2-line block ×4, first 2 shown]
	flat_load_dword v4, v[0:1]
	flat_load_dword v5, v[2:3]
	s_waitcnt vmcnt(0) lgkmcnt(0)
	v_fmac_f32_e32 v4, s13, v5
	flat_store_dword v[0:1], v4
.LBB59_9:
	s_endpgm
	.section	.rodata,"a",@progbits
	.p2align	6, 0x0
	.amdhsa_kernel _ZL27rocblas_axpy_kernel_batchedIiLi128ELi8EffPKPKfPKPfEviT3_lT4_lT_lT5_lS9_li
		.amdhsa_group_segment_fixed_size 0
		.amdhsa_private_segment_fixed_size 0
		.amdhsa_kernarg_size 84
		.amdhsa_user_sgpr_count 6
		.amdhsa_user_sgpr_private_segment_buffer 1
		.amdhsa_user_sgpr_dispatch_ptr 0
		.amdhsa_user_sgpr_queue_ptr 0
		.amdhsa_user_sgpr_kernarg_segment_ptr 1
		.amdhsa_user_sgpr_dispatch_id 0
		.amdhsa_user_sgpr_flat_scratch_init 0
		.amdhsa_user_sgpr_private_segment_size 0
		.amdhsa_uses_dynamic_stack 0
		.amdhsa_system_sgpr_private_segment_wavefront_offset 0
		.amdhsa_system_sgpr_workgroup_id_x 1
		.amdhsa_system_sgpr_workgroup_id_y 0
		.amdhsa_system_sgpr_workgroup_id_z 1
		.amdhsa_system_sgpr_workgroup_info 0
		.amdhsa_system_vgpr_workitem_id 1
		.amdhsa_next_free_vgpr 11
		.amdhsa_next_free_sgpr 18
		.amdhsa_reserve_vcc 1
		.amdhsa_reserve_flat_scratch 0
		.amdhsa_float_round_mode_32 0
		.amdhsa_float_round_mode_16_64 0
		.amdhsa_float_denorm_mode_32 3
		.amdhsa_float_denorm_mode_16_64 3
		.amdhsa_dx10_clamp 1
		.amdhsa_ieee_mode 1
		.amdhsa_fp16_overflow 0
		.amdhsa_exception_fp_ieee_invalid_op 0
		.amdhsa_exception_fp_denorm_src 0
		.amdhsa_exception_fp_ieee_div_zero 0
		.amdhsa_exception_fp_ieee_overflow 0
		.amdhsa_exception_fp_ieee_underflow 0
		.amdhsa_exception_fp_ieee_inexact 0
		.amdhsa_exception_int_div_zero 0
	.end_amdhsa_kernel
	.section	.text._ZL27rocblas_axpy_kernel_batchedIiLi128ELi8EffPKPKfPKPfEviT3_lT4_lT_lT5_lS9_li,"axG",@progbits,_ZL27rocblas_axpy_kernel_batchedIiLi128ELi8EffPKPKfPKPfEviT3_lT4_lT_lT5_lS9_li,comdat
.Lfunc_end59:
	.size	_ZL27rocblas_axpy_kernel_batchedIiLi128ELi8EffPKPKfPKPfEviT3_lT4_lT_lT5_lS9_li, .Lfunc_end59-_ZL27rocblas_axpy_kernel_batchedIiLi128ELi8EffPKPKfPKPfEviT3_lT4_lT_lT5_lS9_li
                                        ; -- End function
	.set _ZL27rocblas_axpy_kernel_batchedIiLi128ELi8EffPKPKfPKPfEviT3_lT4_lT_lT5_lS9_li.num_vgpr, 11
	.set _ZL27rocblas_axpy_kernel_batchedIiLi128ELi8EffPKPKfPKPfEviT3_lT4_lT_lT5_lS9_li.num_agpr, 0
	.set _ZL27rocblas_axpy_kernel_batchedIiLi128ELi8EffPKPKfPKPfEviT3_lT4_lT_lT5_lS9_li.numbered_sgpr, 18
	.set _ZL27rocblas_axpy_kernel_batchedIiLi128ELi8EffPKPKfPKPfEviT3_lT4_lT_lT5_lS9_li.num_named_barrier, 0
	.set _ZL27rocblas_axpy_kernel_batchedIiLi128ELi8EffPKPKfPKPfEviT3_lT4_lT_lT5_lS9_li.private_seg_size, 0
	.set _ZL27rocblas_axpy_kernel_batchedIiLi128ELi8EffPKPKfPKPfEviT3_lT4_lT_lT5_lS9_li.uses_vcc, 1
	.set _ZL27rocblas_axpy_kernel_batchedIiLi128ELi8EffPKPKfPKPfEviT3_lT4_lT_lT5_lS9_li.uses_flat_scratch, 0
	.set _ZL27rocblas_axpy_kernel_batchedIiLi128ELi8EffPKPKfPKPfEviT3_lT4_lT_lT5_lS9_li.has_dyn_sized_stack, 0
	.set _ZL27rocblas_axpy_kernel_batchedIiLi128ELi8EffPKPKfPKPfEviT3_lT4_lT_lT5_lS9_li.has_recursion, 0
	.set _ZL27rocblas_axpy_kernel_batchedIiLi128ELi8EffPKPKfPKPfEviT3_lT4_lT_lT5_lS9_li.has_indirect_call, 0
	.section	.AMDGPU.csdata,"",@progbits
; Kernel info:
; codeLenInByte = 816
; TotalNumSgprs: 22
; NumVgprs: 11
; ScratchSize: 0
; MemoryBound: 0
; FloatMode: 240
; IeeeMode: 1
; LDSByteSize: 0 bytes/workgroup (compile time only)
; SGPRBlocks: 2
; VGPRBlocks: 2
; NumSGPRsForWavesPerEU: 22
; NumVGPRsForWavesPerEU: 11
; Occupancy: 10
; WaveLimiterHint : 1
; COMPUTE_PGM_RSRC2:SCRATCH_EN: 0
; COMPUTE_PGM_RSRC2:USER_SGPR: 6
; COMPUTE_PGM_RSRC2:TRAP_HANDLER: 0
; COMPUTE_PGM_RSRC2:TGID_X_EN: 1
; COMPUTE_PGM_RSRC2:TGID_Y_EN: 0
; COMPUTE_PGM_RSRC2:TGID_Z_EN: 1
; COMPUTE_PGM_RSRC2:TIDIG_COMP_CNT: 1
	.section	.text._ZL19rocblas_axpy_kernelIiLi256EfPKfPKS1_PKPfEviT2_lT3_lT_lT4_lS9_li,"axG",@progbits,_ZL19rocblas_axpy_kernelIiLi256EfPKfPKS1_PKPfEviT2_lT3_lT_lT4_lS9_li,comdat
	.globl	_ZL19rocblas_axpy_kernelIiLi256EfPKfPKS1_PKPfEviT2_lT3_lT_lT4_lS9_li ; -- Begin function _ZL19rocblas_axpy_kernelIiLi256EfPKfPKS1_PKPfEviT2_lT3_lT_lT4_lS9_li
	.p2align	8
	.type	_ZL19rocblas_axpy_kernelIiLi256EfPKfPKS1_PKPfEviT2_lT3_lT_lT4_lS9_li,@function
_ZL19rocblas_axpy_kernelIiLi256EfPKfPKS1_PKPfEviT2_lT3_lT_lT4_lS9_li: ; @_ZL19rocblas_axpy_kernelIiLi256EfPKfPKS1_PKPfEviT2_lT3_lT_lT4_lS9_li
; %bb.0:
	s_load_dword s12, s[4:5], 0x0
	s_load_dwordx4 s[8:11], s[4:5], 0x8
	v_lshl_or_b32 v0, s6, 8, v0
	v_mov_b32_e32 v1, 0
	s_mov_b32 s0, s7
	s_waitcnt lgkmcnt(0)
	s_ashr_i32 s13, s12, 31
	s_mul_i32 s1, s11, s7
	s_mul_hi_u32 s2, s10, s7
	s_add_i32 s3, s2, s1
	s_mul_i32 s2, s10, s7
	s_lshl_b64 s[2:3], s[2:3], 2
	s_add_u32 s2, s8, s2
	s_addc_u32 s3, s9, s3
	s_load_dword s2, s[2:3], 0x0
	v_cmp_gt_i64_e32 vcc, s[12:13], v[0:1]
	s_waitcnt lgkmcnt(0)
	v_cmp_neq_f32_e64 s[6:7], s2, 0
	s_and_b64 s[6:7], vcc, s[6:7]
	s_and_saveexec_b64 s[8:9], s[6:7]
	s_cbranch_execz .LBB60_2
; %bb.1:
	s_load_dword s3, s[4:5], 0x28
	s_load_dwordx4 s[8:11], s[4:5], 0x18
	s_load_dword s16, s[4:5], 0x48
	s_mov_b32 s1, 0
	s_lshl_b64 s[0:1], s[0:1], 3
	s_waitcnt lgkmcnt(0)
	v_mad_u64_u32 v[1:2], s[6:7], s3, v0, 0
	s_ashr_i32 s3, s3, 31
	s_ashr_i32 s17, s16, 31
	v_mad_u64_u32 v[2:3], s[6:7], s3, v0, v[2:3]
	s_add_u32 s6, s8, s0
	s_addc_u32 s7, s9, s1
	s_load_dwordx2 s[8:9], s[6:7], 0x0
	s_load_dwordx4 s[12:15], s[4:5], 0x38
	s_lshl_b64 s[4:5], s[10:11], 2
	v_mad_u64_u32 v[3:4], s[6:7], s16, v0, 0
	s_waitcnt lgkmcnt(0)
	s_add_u32 s3, s8, s4
	s_addc_u32 s4, s9, s5
	s_add_u32 s0, s12, s0
	s_addc_u32 s1, s13, s1
	s_load_dwordx2 s[0:1], s[0:1], 0x0
	v_mov_b32_e32 v6, s4
	v_mad_u64_u32 v[4:5], s[4:5], s17, v0, v[4:5]
	v_lshlrev_b64 v[1:2], 2, v[1:2]
	s_lshl_b64 s[4:5], s[14:15], 2
	v_add_co_u32_e32 v0, vcc, s3, v1
	v_addc_co_u32_e32 v1, vcc, v6, v2, vcc
	s_waitcnt lgkmcnt(0)
	s_add_u32 s0, s0, s4
	v_lshlrev_b64 v[2:3], 2, v[3:4]
	s_addc_u32 s1, s1, s5
	v_mov_b32_e32 v4, s1
	v_add_co_u32_e32 v2, vcc, s0, v2
	v_addc_co_u32_e32 v3, vcc, v4, v3, vcc
	flat_load_dword v4, v[2:3]
	flat_load_dword v5, v[0:1]
	s_waitcnt vmcnt(0) lgkmcnt(0)
	v_fmac_f32_e32 v4, s2, v5
	flat_store_dword v[2:3], v4
.LBB60_2:
	s_endpgm
	.section	.rodata,"a",@progbits
	.p2align	6, 0x0
	.amdhsa_kernel _ZL19rocblas_axpy_kernelIiLi256EfPKfPKS1_PKPfEviT2_lT3_lT_lT4_lS9_li
		.amdhsa_group_segment_fixed_size 0
		.amdhsa_private_segment_fixed_size 0
		.amdhsa_kernarg_size 92
		.amdhsa_user_sgpr_count 6
		.amdhsa_user_sgpr_private_segment_buffer 1
		.amdhsa_user_sgpr_dispatch_ptr 0
		.amdhsa_user_sgpr_queue_ptr 0
		.amdhsa_user_sgpr_kernarg_segment_ptr 1
		.amdhsa_user_sgpr_dispatch_id 0
		.amdhsa_user_sgpr_flat_scratch_init 0
		.amdhsa_user_sgpr_private_segment_size 0
		.amdhsa_uses_dynamic_stack 0
		.amdhsa_system_sgpr_private_segment_wavefront_offset 0
		.amdhsa_system_sgpr_workgroup_id_x 1
		.amdhsa_system_sgpr_workgroup_id_y 0
		.amdhsa_system_sgpr_workgroup_id_z 1
		.amdhsa_system_sgpr_workgroup_info 0
		.amdhsa_system_vgpr_workitem_id 0
		.amdhsa_next_free_vgpr 7
		.amdhsa_next_free_sgpr 18
		.amdhsa_reserve_vcc 1
		.amdhsa_reserve_flat_scratch 0
		.amdhsa_float_round_mode_32 0
		.amdhsa_float_round_mode_16_64 0
		.amdhsa_float_denorm_mode_32 3
		.amdhsa_float_denorm_mode_16_64 3
		.amdhsa_dx10_clamp 1
		.amdhsa_ieee_mode 1
		.amdhsa_fp16_overflow 0
		.amdhsa_exception_fp_ieee_invalid_op 0
		.amdhsa_exception_fp_denorm_src 0
		.amdhsa_exception_fp_ieee_div_zero 0
		.amdhsa_exception_fp_ieee_overflow 0
		.amdhsa_exception_fp_ieee_underflow 0
		.amdhsa_exception_fp_ieee_inexact 0
		.amdhsa_exception_int_div_zero 0
	.end_amdhsa_kernel
	.section	.text._ZL19rocblas_axpy_kernelIiLi256EfPKfPKS1_PKPfEviT2_lT3_lT_lT4_lS9_li,"axG",@progbits,_ZL19rocblas_axpy_kernelIiLi256EfPKfPKS1_PKPfEviT2_lT3_lT_lT4_lS9_li,comdat
.Lfunc_end60:
	.size	_ZL19rocblas_axpy_kernelIiLi256EfPKfPKS1_PKPfEviT2_lT3_lT_lT4_lS9_li, .Lfunc_end60-_ZL19rocblas_axpy_kernelIiLi256EfPKfPKS1_PKPfEviT2_lT3_lT_lT4_lS9_li
                                        ; -- End function
	.set _ZL19rocblas_axpy_kernelIiLi256EfPKfPKS1_PKPfEviT2_lT3_lT_lT4_lS9_li.num_vgpr, 7
	.set _ZL19rocblas_axpy_kernelIiLi256EfPKfPKS1_PKPfEviT2_lT3_lT_lT4_lS9_li.num_agpr, 0
	.set _ZL19rocblas_axpy_kernelIiLi256EfPKfPKS1_PKPfEviT2_lT3_lT_lT4_lS9_li.numbered_sgpr, 18
	.set _ZL19rocblas_axpy_kernelIiLi256EfPKfPKS1_PKPfEviT2_lT3_lT_lT4_lS9_li.num_named_barrier, 0
	.set _ZL19rocblas_axpy_kernelIiLi256EfPKfPKS1_PKPfEviT2_lT3_lT_lT4_lS9_li.private_seg_size, 0
	.set _ZL19rocblas_axpy_kernelIiLi256EfPKfPKS1_PKPfEviT2_lT3_lT_lT4_lS9_li.uses_vcc, 1
	.set _ZL19rocblas_axpy_kernelIiLi256EfPKfPKS1_PKPfEviT2_lT3_lT_lT4_lS9_li.uses_flat_scratch, 0
	.set _ZL19rocblas_axpy_kernelIiLi256EfPKfPKS1_PKPfEviT2_lT3_lT_lT4_lS9_li.has_dyn_sized_stack, 0
	.set _ZL19rocblas_axpy_kernelIiLi256EfPKfPKS1_PKPfEviT2_lT3_lT_lT4_lS9_li.has_recursion, 0
	.set _ZL19rocblas_axpy_kernelIiLi256EfPKfPKS1_PKPfEviT2_lT3_lT_lT4_lS9_li.has_indirect_call, 0
	.section	.AMDGPU.csdata,"",@progbits
; Kernel info:
; codeLenInByte = 328
; TotalNumSgprs: 22
; NumVgprs: 7
; ScratchSize: 0
; MemoryBound: 0
; FloatMode: 240
; IeeeMode: 1
; LDSByteSize: 0 bytes/workgroup (compile time only)
; SGPRBlocks: 2
; VGPRBlocks: 1
; NumSGPRsForWavesPerEU: 22
; NumVGPRsForWavesPerEU: 7
; Occupancy: 10
; WaveLimiterHint : 1
; COMPUTE_PGM_RSRC2:SCRATCH_EN: 0
; COMPUTE_PGM_RSRC2:USER_SGPR: 6
; COMPUTE_PGM_RSRC2:TRAP_HANDLER: 0
; COMPUTE_PGM_RSRC2:TGID_X_EN: 1
; COMPUTE_PGM_RSRC2:TGID_Y_EN: 0
; COMPUTE_PGM_RSRC2:TGID_Z_EN: 1
; COMPUTE_PGM_RSRC2:TIDIG_COMP_CNT: 0
	.section	.text._ZL19rocblas_axpy_kernelIiLi256EffPKPKfPKPfEviT2_lT3_lT_lT4_lS9_li,"axG",@progbits,_ZL19rocblas_axpy_kernelIiLi256EffPKPKfPKPfEviT2_lT3_lT_lT4_lS9_li,comdat
	.globl	_ZL19rocblas_axpy_kernelIiLi256EffPKPKfPKPfEviT2_lT3_lT_lT4_lS9_li ; -- Begin function _ZL19rocblas_axpy_kernelIiLi256EffPKPKfPKPfEviT2_lT3_lT_lT4_lS9_li
	.p2align	8
	.type	_ZL19rocblas_axpy_kernelIiLi256EffPKPKfPKPfEviT2_lT3_lT_lT4_lS9_li,@function
_ZL19rocblas_axpy_kernelIiLi256EffPKPKfPKPfEviT2_lT3_lT_lT4_lS9_li: ; @_ZL19rocblas_axpy_kernelIiLi256EffPKPKfPKPfEviT2_lT3_lT_lT4_lS9_li
; %bb.0:
	s_load_dwordx2 s[0:1], s[4:5], 0x0
	s_mov_b32 s2, s7
	v_lshl_or_b32 v0, s6, 8, v0
	v_mov_b32_e32 v1, 0
	s_mov_b32 s3, 0
	s_waitcnt lgkmcnt(0)
	s_ashr_i32 s7, s0, 31
	s_mov_b32 s6, s0
	v_cmp_gt_i64_e32 vcc, s[6:7], v[0:1]
	v_cmp_neq_f32_e64 s[6:7], s1, 0
	s_and_b64 s[6:7], s[6:7], vcc
	s_and_saveexec_b64 s[8:9], s[6:7]
	s_cbranch_execz .LBB61_2
; %bb.1:
	s_load_dword s0, s[4:5], 0x20
	s_load_dwordx4 s[8:11], s[4:5], 0x10
	s_load_dword s16, s[4:5], 0x40
	s_lshl_b64 s[2:3], s[2:3], 3
	s_waitcnt lgkmcnt(0)
	v_mad_u64_u32 v[1:2], s[6:7], s0, v0, 0
	s_ashr_i32 s0, s0, 31
	s_ashr_i32 s17, s16, 31
	v_mad_u64_u32 v[2:3], s[6:7], s0, v0, v[2:3]
	s_add_u32 s6, s8, s2
	s_addc_u32 s7, s9, s3
	s_load_dwordx2 s[8:9], s[6:7], 0x0
	s_load_dwordx4 s[12:15], s[4:5], 0x30
	s_lshl_b64 s[4:5], s[10:11], 2
	v_mad_u64_u32 v[3:4], s[6:7], s16, v0, 0
	s_waitcnt lgkmcnt(0)
	s_add_u32 s0, s8, s4
	s_addc_u32 s4, s9, s5
	s_add_u32 s2, s12, s2
	s_addc_u32 s3, s13, s3
	s_load_dwordx2 s[2:3], s[2:3], 0x0
	v_mov_b32_e32 v6, s4
	v_mad_u64_u32 v[4:5], s[4:5], s17, v0, v[4:5]
	v_lshlrev_b64 v[1:2], 2, v[1:2]
	s_lshl_b64 s[4:5], s[14:15], 2
	v_add_co_u32_e32 v0, vcc, s0, v1
	v_addc_co_u32_e32 v1, vcc, v6, v2, vcc
	s_waitcnt lgkmcnt(0)
	s_add_u32 s0, s2, s4
	v_lshlrev_b64 v[2:3], 2, v[3:4]
	s_addc_u32 s2, s3, s5
	v_mov_b32_e32 v4, s2
	v_add_co_u32_e32 v2, vcc, s0, v2
	v_addc_co_u32_e32 v3, vcc, v4, v3, vcc
	flat_load_dword v4, v[2:3]
	flat_load_dword v5, v[0:1]
	s_waitcnt vmcnt(0) lgkmcnt(0)
	v_fmac_f32_e32 v4, s1, v5
	flat_store_dword v[2:3], v4
.LBB61_2:
	s_endpgm
	.section	.rodata,"a",@progbits
	.p2align	6, 0x0
	.amdhsa_kernel _ZL19rocblas_axpy_kernelIiLi256EffPKPKfPKPfEviT2_lT3_lT_lT4_lS9_li
		.amdhsa_group_segment_fixed_size 0
		.amdhsa_private_segment_fixed_size 0
		.amdhsa_kernarg_size 84
		.amdhsa_user_sgpr_count 6
		.amdhsa_user_sgpr_private_segment_buffer 1
		.amdhsa_user_sgpr_dispatch_ptr 0
		.amdhsa_user_sgpr_queue_ptr 0
		.amdhsa_user_sgpr_kernarg_segment_ptr 1
		.amdhsa_user_sgpr_dispatch_id 0
		.amdhsa_user_sgpr_flat_scratch_init 0
		.amdhsa_user_sgpr_private_segment_size 0
		.amdhsa_uses_dynamic_stack 0
		.amdhsa_system_sgpr_private_segment_wavefront_offset 0
		.amdhsa_system_sgpr_workgroup_id_x 1
		.amdhsa_system_sgpr_workgroup_id_y 0
		.amdhsa_system_sgpr_workgroup_id_z 1
		.amdhsa_system_sgpr_workgroup_info 0
		.amdhsa_system_vgpr_workitem_id 0
		.amdhsa_next_free_vgpr 7
		.amdhsa_next_free_sgpr 18
		.amdhsa_reserve_vcc 1
		.amdhsa_reserve_flat_scratch 0
		.amdhsa_float_round_mode_32 0
		.amdhsa_float_round_mode_16_64 0
		.amdhsa_float_denorm_mode_32 3
		.amdhsa_float_denorm_mode_16_64 3
		.amdhsa_dx10_clamp 1
		.amdhsa_ieee_mode 1
		.amdhsa_fp16_overflow 0
		.amdhsa_exception_fp_ieee_invalid_op 0
		.amdhsa_exception_fp_denorm_src 0
		.amdhsa_exception_fp_ieee_div_zero 0
		.amdhsa_exception_fp_ieee_overflow 0
		.amdhsa_exception_fp_ieee_underflow 0
		.amdhsa_exception_fp_ieee_inexact 0
		.amdhsa_exception_int_div_zero 0
	.end_amdhsa_kernel
	.section	.text._ZL19rocblas_axpy_kernelIiLi256EffPKPKfPKPfEviT2_lT3_lT_lT4_lS9_li,"axG",@progbits,_ZL19rocblas_axpy_kernelIiLi256EffPKPKfPKPfEviT2_lT3_lT_lT4_lS9_li,comdat
.Lfunc_end61:
	.size	_ZL19rocblas_axpy_kernelIiLi256EffPKPKfPKPfEviT2_lT3_lT_lT4_lS9_li, .Lfunc_end61-_ZL19rocblas_axpy_kernelIiLi256EffPKPKfPKPfEviT2_lT3_lT_lT4_lS9_li
                                        ; -- End function
	.set _ZL19rocblas_axpy_kernelIiLi256EffPKPKfPKPfEviT2_lT3_lT_lT4_lS9_li.num_vgpr, 7
	.set _ZL19rocblas_axpy_kernelIiLi256EffPKPKfPKPfEviT2_lT3_lT_lT4_lS9_li.num_agpr, 0
	.set _ZL19rocblas_axpy_kernelIiLi256EffPKPKfPKPfEviT2_lT3_lT_lT4_lS9_li.numbered_sgpr, 18
	.set _ZL19rocblas_axpy_kernelIiLi256EffPKPKfPKPfEviT2_lT3_lT_lT4_lS9_li.num_named_barrier, 0
	.set _ZL19rocblas_axpy_kernelIiLi256EffPKPKfPKPfEviT2_lT3_lT_lT4_lS9_li.private_seg_size, 0
	.set _ZL19rocblas_axpy_kernelIiLi256EffPKPKfPKPfEviT2_lT3_lT_lT4_lS9_li.uses_vcc, 1
	.set _ZL19rocblas_axpy_kernelIiLi256EffPKPKfPKPfEviT2_lT3_lT_lT4_lS9_li.uses_flat_scratch, 0
	.set _ZL19rocblas_axpy_kernelIiLi256EffPKPKfPKPfEviT2_lT3_lT_lT4_lS9_li.has_dyn_sized_stack, 0
	.set _ZL19rocblas_axpy_kernelIiLi256EffPKPKfPKPfEviT2_lT3_lT_lT4_lS9_li.has_recursion, 0
	.set _ZL19rocblas_axpy_kernelIiLi256EffPKPKfPKPfEviT2_lT3_lT_lT4_lS9_li.has_indirect_call, 0
	.section	.AMDGPU.csdata,"",@progbits
; Kernel info:
; codeLenInByte = 284
; TotalNumSgprs: 22
; NumVgprs: 7
; ScratchSize: 0
; MemoryBound: 0
; FloatMode: 240
; IeeeMode: 1
; LDSByteSize: 0 bytes/workgroup (compile time only)
; SGPRBlocks: 2
; VGPRBlocks: 1
; NumSGPRsForWavesPerEU: 22
; NumVGPRsForWavesPerEU: 7
; Occupancy: 10
; WaveLimiterHint : 1
; COMPUTE_PGM_RSRC2:SCRATCH_EN: 0
; COMPUTE_PGM_RSRC2:USER_SGPR: 6
; COMPUTE_PGM_RSRC2:TRAP_HANDLER: 0
; COMPUTE_PGM_RSRC2:TGID_X_EN: 1
; COMPUTE_PGM_RSRC2:TGID_Y_EN: 0
; COMPUTE_PGM_RSRC2:TGID_Z_EN: 1
; COMPUTE_PGM_RSRC2:TIDIG_COMP_CNT: 0
	.section	.text._ZL26rocblas_haxpy_mlt_8_kernelILi256EPKDF16_PKPKdPKPdEviT0_lT1_llT2_lli,"axG",@progbits,_ZL26rocblas_haxpy_mlt_8_kernelILi256EPKDF16_PKPKdPKPdEviT0_lT1_llT2_lli,comdat
	.globl	_ZL26rocblas_haxpy_mlt_8_kernelILi256EPKDF16_PKPKdPKPdEviT0_lT1_llT2_lli ; -- Begin function _ZL26rocblas_haxpy_mlt_8_kernelILi256EPKDF16_PKPKdPKPdEviT0_lT1_llT2_lli
	.p2align	8
	.type	_ZL26rocblas_haxpy_mlt_8_kernelILi256EPKDF16_PKPKdPKPdEviT0_lT1_llT2_lli,@function
_ZL26rocblas_haxpy_mlt_8_kernelILi256EPKDF16_PKPKdPKPdEviT0_lT1_llT2_lli: ; @_ZL26rocblas_haxpy_mlt_8_kernelILi256EPKDF16_PKPKdPKPdEviT0_lT1_llT2_lli
; %bb.0:
	s_load_dwordx8 s[8:15], s[4:5], 0x8
	v_mov_b32_e32 v1, 0
	s_waitcnt lgkmcnt(0)
	s_mul_i32 s1, s11, s7
	s_mul_hi_u32 s2, s10, s7
	s_add_i32 s3, s2, s1
	s_mul_i32 s2, s10, s7
	s_lshl_b64 s[2:3], s[2:3], 1
	s_add_u32 s2, s8, s2
	s_addc_u32 s3, s9, s3
	global_load_ushort v2, v1, s[2:3]
	s_mov_b32 s1, 0
	s_waitcnt vmcnt(0)
	v_and_b32_e32 v3, 0xffff, v2
	v_lshl_or_b32 v3, v2, 16, v3
	v_and_b32_e32 v3, 0x7fff, v3
	v_cmp_eq_u32_e32 vcc, 0, v3
	s_cbranch_vccnz .LBB62_3
; %bb.1:
	s_load_dword s2, s[4:5], 0x0
	v_lshl_or_b32 v0, s6, 8, v0
	v_lshlrev_b64 v[0:1], 3, v[0:1]
	s_waitcnt lgkmcnt(0)
	s_ashr_i32 s3, s2, 31
	v_cmp_gt_i64_e32 vcc, s[2:3], v[0:1]
	s_and_saveexec_b64 s[2:3], vcc
	s_cbranch_execz .LBB62_3
; %bb.2:
	s_mov_b32 s0, s7
	s_lshl_b64 s[6:7], s[0:1], 3
	s_add_u32 s8, s12, s6
	s_addc_u32 s9, s13, s7
	s_load_dwordx2 s[10:11], s[8:9], 0x0
	s_load_dwordx4 s[0:3], s[4:5], 0x30
	s_lshl_b64 s[4:5], s[14:15], 3
	v_lshlrev_b64 v[0:1], 3, v[0:1]
	s_waitcnt lgkmcnt(0)
	s_add_u32 s4, s10, s4
	s_addc_u32 s5, s11, s5
	s_add_u32 s0, s0, s6
	s_addc_u32 s1, s1, s7
	s_load_dwordx2 s[0:1], s[0:1], 0x0
	s_lshl_b64 s[2:3], s[2:3], 3
	v_mov_b32_e32 v3, s5
	v_add_co_u32_e32 v11, vcc, s4, v0
	s_waitcnt lgkmcnt(0)
	s_add_u32 s0, s0, s2
	v_addc_co_u32_e32 v12, vcc, v3, v1, vcc
	s_addc_u32 s1, s1, s3
	v_mov_b32_e32 v3, s1
	v_add_co_u32_e32 v0, vcc, s0, v0
	v_addc_co_u32_e32 v1, vcc, v3, v1, vcc
	flat_load_dwordx4 v[3:6], v[11:12]
	flat_load_dwordx4 v[7:10], v[0:1]
	s_waitcnt vmcnt(0) lgkmcnt(0)
	v_pk_fma_f16 v6, v2, v6, v10 op_sel_hi:[0,1,1]
	v_pk_fma_f16 v5, v2, v5, v9 op_sel_hi:[0,1,1]
	;; [unrolled: 1-line block ×4, first 2 shown]
	flat_store_dwordx4 v[0:1], v[3:6]
.LBB62_3:
	s_endpgm
	.section	.rodata,"a",@progbits
	.p2align	6, 0x0
	.amdhsa_kernel _ZL26rocblas_haxpy_mlt_8_kernelILi256EPKDF16_PKPKdPKPdEviT0_lT1_llT2_lli
		.amdhsa_group_segment_fixed_size 0
		.amdhsa_private_segment_fixed_size 0
		.amdhsa_kernarg_size 76
		.amdhsa_user_sgpr_count 6
		.amdhsa_user_sgpr_private_segment_buffer 1
		.amdhsa_user_sgpr_dispatch_ptr 0
		.amdhsa_user_sgpr_queue_ptr 0
		.amdhsa_user_sgpr_kernarg_segment_ptr 1
		.amdhsa_user_sgpr_dispatch_id 0
		.amdhsa_user_sgpr_flat_scratch_init 0
		.amdhsa_user_sgpr_private_segment_size 0
		.amdhsa_uses_dynamic_stack 0
		.amdhsa_system_sgpr_private_segment_wavefront_offset 0
		.amdhsa_system_sgpr_workgroup_id_x 1
		.amdhsa_system_sgpr_workgroup_id_y 0
		.amdhsa_system_sgpr_workgroup_id_z 1
		.amdhsa_system_sgpr_workgroup_info 0
		.amdhsa_system_vgpr_workitem_id 0
		.amdhsa_next_free_vgpr 13
		.amdhsa_next_free_sgpr 16
		.amdhsa_reserve_vcc 1
		.amdhsa_reserve_flat_scratch 0
		.amdhsa_float_round_mode_32 0
		.amdhsa_float_round_mode_16_64 0
		.amdhsa_float_denorm_mode_32 3
		.amdhsa_float_denorm_mode_16_64 3
		.amdhsa_dx10_clamp 1
		.amdhsa_ieee_mode 1
		.amdhsa_fp16_overflow 0
		.amdhsa_exception_fp_ieee_invalid_op 0
		.amdhsa_exception_fp_denorm_src 0
		.amdhsa_exception_fp_ieee_div_zero 0
		.amdhsa_exception_fp_ieee_overflow 0
		.amdhsa_exception_fp_ieee_underflow 0
		.amdhsa_exception_fp_ieee_inexact 0
		.amdhsa_exception_int_div_zero 0
	.end_amdhsa_kernel
	.section	.text._ZL26rocblas_haxpy_mlt_8_kernelILi256EPKDF16_PKPKdPKPdEviT0_lT1_llT2_lli,"axG",@progbits,_ZL26rocblas_haxpy_mlt_8_kernelILi256EPKDF16_PKPKdPKPdEviT0_lT1_llT2_lli,comdat
.Lfunc_end62:
	.size	_ZL26rocblas_haxpy_mlt_8_kernelILi256EPKDF16_PKPKdPKPdEviT0_lT1_llT2_lli, .Lfunc_end62-_ZL26rocblas_haxpy_mlt_8_kernelILi256EPKDF16_PKPKdPKPdEviT0_lT1_llT2_lli
                                        ; -- End function
	.set _ZL26rocblas_haxpy_mlt_8_kernelILi256EPKDF16_PKPKdPKPdEviT0_lT1_llT2_lli.num_vgpr, 13
	.set _ZL26rocblas_haxpy_mlt_8_kernelILi256EPKDF16_PKPKdPKPdEviT0_lT1_llT2_lli.num_agpr, 0
	.set _ZL26rocblas_haxpy_mlt_8_kernelILi256EPKDF16_PKPKdPKPdEviT0_lT1_llT2_lli.numbered_sgpr, 16
	.set _ZL26rocblas_haxpy_mlt_8_kernelILi256EPKDF16_PKPKdPKPdEviT0_lT1_llT2_lli.num_named_barrier, 0
	.set _ZL26rocblas_haxpy_mlt_8_kernelILi256EPKDF16_PKPKdPKPdEviT0_lT1_llT2_lli.private_seg_size, 0
	.set _ZL26rocblas_haxpy_mlt_8_kernelILi256EPKDF16_PKPKdPKPdEviT0_lT1_llT2_lli.uses_vcc, 1
	.set _ZL26rocblas_haxpy_mlt_8_kernelILi256EPKDF16_PKPKdPKPdEviT0_lT1_llT2_lli.uses_flat_scratch, 0
	.set _ZL26rocblas_haxpy_mlt_8_kernelILi256EPKDF16_PKPKdPKPdEviT0_lT1_llT2_lli.has_dyn_sized_stack, 0
	.set _ZL26rocblas_haxpy_mlt_8_kernelILi256EPKDF16_PKPKdPKPdEviT0_lT1_llT2_lli.has_recursion, 0
	.set _ZL26rocblas_haxpy_mlt_8_kernelILi256EPKDF16_PKPKdPKPdEviT0_lT1_llT2_lli.has_indirect_call, 0
	.section	.AMDGPU.csdata,"",@progbits
; Kernel info:
; codeLenInByte = 312
; TotalNumSgprs: 20
; NumVgprs: 13
; ScratchSize: 0
; MemoryBound: 0
; FloatMode: 240
; IeeeMode: 1
; LDSByteSize: 0 bytes/workgroup (compile time only)
; SGPRBlocks: 2
; VGPRBlocks: 3
; NumSGPRsForWavesPerEU: 20
; NumVGPRsForWavesPerEU: 13
; Occupancy: 10
; WaveLimiterHint : 1
; COMPUTE_PGM_RSRC2:SCRATCH_EN: 0
; COMPUTE_PGM_RSRC2:USER_SGPR: 6
; COMPUTE_PGM_RSRC2:TRAP_HANDLER: 0
; COMPUTE_PGM_RSRC2:TGID_X_EN: 1
; COMPUTE_PGM_RSRC2:TGID_Y_EN: 0
; COMPUTE_PGM_RSRC2:TGID_Z_EN: 1
; COMPUTE_PGM_RSRC2:TIDIG_COMP_CNT: 0
	.section	.text._ZL26rocblas_haxpy_mod_8_kernelILi256EPKdPKS1_PKPdEviT0_lT1_llT2_lli,"axG",@progbits,_ZL26rocblas_haxpy_mod_8_kernelILi256EPKdPKS1_PKPdEviT0_lT1_llT2_lli,comdat
	.globl	_ZL26rocblas_haxpy_mod_8_kernelILi256EPKdPKS1_PKPdEviT0_lT1_llT2_lli ; -- Begin function _ZL26rocblas_haxpy_mod_8_kernelILi256EPKdPKS1_PKPdEviT0_lT1_llT2_lli
	.p2align	8
	.type	_ZL26rocblas_haxpy_mod_8_kernelILi256EPKdPKS1_PKPdEviT0_lT1_llT2_lli,@function
_ZL26rocblas_haxpy_mod_8_kernelILi256EPKdPKS1_PKPdEviT0_lT1_llT2_lli: ; @_ZL26rocblas_haxpy_mod_8_kernelILi256EPKdPKS1_PKPdEviT0_lT1_llT2_lli
; %bb.0:
	s_load_dword s16, s[4:5], 0x0
	s_load_dwordx8 s[8:15], s[4:5], 0x8
	v_lshl_or_b32 v0, s6, 8, v0
	v_mov_b32_e32 v1, 0
	s_mov_b32 s2, s7
	s_waitcnt lgkmcnt(0)
	s_ashr_i32 s17, s16, 31
	s_mul_i32 s0, s11, s7
	s_mul_hi_u32 s1, s10, s7
	s_add_i32 s1, s1, s0
	s_mul_i32 s0, s10, s7
	s_lshl_b64 s[0:1], s[0:1], 3
	s_add_u32 s0, s8, s0
	s_addc_u32 s1, s9, s1
	s_load_dwordx2 s[0:1], s[0:1], 0x0
	v_cmp_gt_i64_e32 vcc, s[16:17], v[0:1]
	s_waitcnt lgkmcnt(0)
	v_cmp_neq_f64_e64 s[8:9], s[0:1], 0
	s_and_b64 s[6:7], vcc, s[8:9]
	s_and_saveexec_b64 s[8:9], s[6:7]
	s_cbranch_execz .LBB63_2
; %bb.1:
	s_mov_b32 s3, 0
	s_lshl_b64 s[2:3], s[2:3], 3
	s_add_u32 s6, s12, s2
	s_addc_u32 s7, s13, s3
	s_load_dwordx2 s[12:13], s[6:7], 0x0
	s_load_dwordx4 s[8:11], s[4:5], 0x30
	s_lshl_b64 s[4:5], s[14:15], 3
	v_lshlrev_b64 v[0:1], 3, v[0:1]
	s_waitcnt lgkmcnt(0)
	s_add_u32 s4, s12, s4
	s_addc_u32 s5, s13, s5
	s_add_u32 s2, s8, s2
	s_addc_u32 s3, s9, s3
	s_load_dwordx2 s[2:3], s[2:3], 0x0
	v_mov_b32_e32 v3, s5
	v_add_co_u32_e32 v2, vcc, s4, v0
	s_lshl_b64 s[4:5], s[10:11], 3
	s_waitcnt lgkmcnt(0)
	s_add_u32 s2, s2, s4
	v_addc_co_u32_e32 v3, vcc, v3, v1, vcc
	s_addc_u32 s3, s3, s5
	v_mov_b32_e32 v4, s3
	v_add_co_u32_e32 v0, vcc, s2, v0
	v_addc_co_u32_e32 v1, vcc, v4, v1, vcc
	flat_load_dwordx2 v[4:5], v[2:3]
	flat_load_dwordx2 v[6:7], v[0:1]
	s_waitcnt vmcnt(0) lgkmcnt(0)
	v_fma_f64 v[2:3], s[0:1], v[4:5], v[6:7]
	flat_store_dwordx2 v[0:1], v[2:3]
.LBB63_2:
	s_endpgm
	.section	.rodata,"a",@progbits
	.p2align	6, 0x0
	.amdhsa_kernel _ZL26rocblas_haxpy_mod_8_kernelILi256EPKdPKS1_PKPdEviT0_lT1_llT2_lli
		.amdhsa_group_segment_fixed_size 0
		.amdhsa_private_segment_fixed_size 0
		.amdhsa_kernarg_size 76
		.amdhsa_user_sgpr_count 6
		.amdhsa_user_sgpr_private_segment_buffer 1
		.amdhsa_user_sgpr_dispatch_ptr 0
		.amdhsa_user_sgpr_queue_ptr 0
		.amdhsa_user_sgpr_kernarg_segment_ptr 1
		.amdhsa_user_sgpr_dispatch_id 0
		.amdhsa_user_sgpr_flat_scratch_init 0
		.amdhsa_user_sgpr_private_segment_size 0
		.amdhsa_uses_dynamic_stack 0
		.amdhsa_system_sgpr_private_segment_wavefront_offset 0
		.amdhsa_system_sgpr_workgroup_id_x 1
		.amdhsa_system_sgpr_workgroup_id_y 0
		.amdhsa_system_sgpr_workgroup_id_z 1
		.amdhsa_system_sgpr_workgroup_info 0
		.amdhsa_system_vgpr_workitem_id 0
		.amdhsa_next_free_vgpr 8
		.amdhsa_next_free_sgpr 18
		.amdhsa_reserve_vcc 1
		.amdhsa_reserve_flat_scratch 0
		.amdhsa_float_round_mode_32 0
		.amdhsa_float_round_mode_16_64 0
		.amdhsa_float_denorm_mode_32 3
		.amdhsa_float_denorm_mode_16_64 3
		.amdhsa_dx10_clamp 1
		.amdhsa_ieee_mode 1
		.amdhsa_fp16_overflow 0
		.amdhsa_exception_fp_ieee_invalid_op 0
		.amdhsa_exception_fp_denorm_src 0
		.amdhsa_exception_fp_ieee_div_zero 0
		.amdhsa_exception_fp_ieee_overflow 0
		.amdhsa_exception_fp_ieee_underflow 0
		.amdhsa_exception_fp_ieee_inexact 0
		.amdhsa_exception_int_div_zero 0
	.end_amdhsa_kernel
	.section	.text._ZL26rocblas_haxpy_mod_8_kernelILi256EPKdPKS1_PKPdEviT0_lT1_llT2_lli,"axG",@progbits,_ZL26rocblas_haxpy_mod_8_kernelILi256EPKdPKS1_PKPdEviT0_lT1_llT2_lli,comdat
.Lfunc_end63:
	.size	_ZL26rocblas_haxpy_mod_8_kernelILi256EPKdPKS1_PKPdEviT0_lT1_llT2_lli, .Lfunc_end63-_ZL26rocblas_haxpy_mod_8_kernelILi256EPKdPKS1_PKPdEviT0_lT1_llT2_lli
                                        ; -- End function
	.set _ZL26rocblas_haxpy_mod_8_kernelILi256EPKdPKS1_PKPdEviT0_lT1_llT2_lli.num_vgpr, 8
	.set _ZL26rocblas_haxpy_mod_8_kernelILi256EPKdPKS1_PKPdEviT0_lT1_llT2_lli.num_agpr, 0
	.set _ZL26rocblas_haxpy_mod_8_kernelILi256EPKdPKS1_PKPdEviT0_lT1_llT2_lli.numbered_sgpr, 18
	.set _ZL26rocblas_haxpy_mod_8_kernelILi256EPKdPKS1_PKPdEviT0_lT1_llT2_lli.num_named_barrier, 0
	.set _ZL26rocblas_haxpy_mod_8_kernelILi256EPKdPKS1_PKPdEviT0_lT1_llT2_lli.private_seg_size, 0
	.set _ZL26rocblas_haxpy_mod_8_kernelILi256EPKdPKS1_PKPdEviT0_lT1_llT2_lli.uses_vcc, 1
	.set _ZL26rocblas_haxpy_mod_8_kernelILi256EPKdPKS1_PKPdEviT0_lT1_llT2_lli.uses_flat_scratch, 0
	.set _ZL26rocblas_haxpy_mod_8_kernelILi256EPKdPKS1_PKPdEviT0_lT1_llT2_lli.has_dyn_sized_stack, 0
	.set _ZL26rocblas_haxpy_mod_8_kernelILi256EPKdPKS1_PKPdEviT0_lT1_llT2_lli.has_recursion, 0
	.set _ZL26rocblas_haxpy_mod_8_kernelILi256EPKdPKS1_PKPdEviT0_lT1_llT2_lli.has_indirect_call, 0
	.section	.AMDGPU.csdata,"",@progbits
; Kernel info:
; codeLenInByte = 256
; TotalNumSgprs: 22
; NumVgprs: 8
; ScratchSize: 0
; MemoryBound: 0
; FloatMode: 240
; IeeeMode: 1
; LDSByteSize: 0 bytes/workgroup (compile time only)
; SGPRBlocks: 2
; VGPRBlocks: 1
; NumSGPRsForWavesPerEU: 22
; NumVGPRsForWavesPerEU: 8
; Occupancy: 10
; WaveLimiterHint : 1
; COMPUTE_PGM_RSRC2:SCRATCH_EN: 0
; COMPUTE_PGM_RSRC2:USER_SGPR: 6
; COMPUTE_PGM_RSRC2:TRAP_HANDLER: 0
; COMPUTE_PGM_RSRC2:TGID_X_EN: 1
; COMPUTE_PGM_RSRC2:TGID_Y_EN: 0
; COMPUTE_PGM_RSRC2:TGID_Z_EN: 1
; COMPUTE_PGM_RSRC2:TIDIG_COMP_CNT: 0
	.section	.text._ZL26rocblas_haxpy_mlt_8_kernelILi256EDF16_PKPKdPKPdEviT0_lT1_llT2_lli,"axG",@progbits,_ZL26rocblas_haxpy_mlt_8_kernelILi256EDF16_PKPKdPKPdEviT0_lT1_llT2_lli,comdat
	.globl	_ZL26rocblas_haxpy_mlt_8_kernelILi256EDF16_PKPKdPKPdEviT0_lT1_llT2_lli ; -- Begin function _ZL26rocblas_haxpy_mlt_8_kernelILi256EDF16_PKPKdPKPdEviT0_lT1_llT2_lli
	.p2align	8
	.type	_ZL26rocblas_haxpy_mlt_8_kernelILi256EDF16_PKPKdPKPdEviT0_lT1_llT2_lli,@function
_ZL26rocblas_haxpy_mlt_8_kernelILi256EDF16_PKPKdPKPdEviT0_lT1_llT2_lli: ; @_ZL26rocblas_haxpy_mlt_8_kernelILi256EDF16_PKPKdPKPdEviT0_lT1_llT2_lli
; %bb.0:
	s_load_dwordx2 s[0:1], s[4:5], 0x0
	s_waitcnt lgkmcnt(0)
	s_pack_ll_b32_b16 s3, s1, s1
	s_and_b32 s3, s3, 0x7fff
	s_cmp_eq_u32 s3, 0
	s_cbranch_scc1 .LBB64_3
; %bb.1:
	v_lshl_or_b32 v0, s6, 8, v0
	v_mov_b32_e32 v1, 0
	v_lshlrev_b64 v[0:1], 3, v[0:1]
	s_mov_b32 s2, s7
	s_ashr_i32 s7, s0, 31
	s_mov_b32 s6, s0
	v_cmp_gt_i64_e32 vcc, s[6:7], v[0:1]
	s_and_saveexec_b64 s[6:7], vcc
	s_cbranch_execz .LBB64_3
; %bb.2:
	s_load_dwordx4 s[8:11], s[4:5], 0x10
	s_load_dwordx4 s[12:15], s[4:5], 0x28
	s_mov_b32 s3, 0
	s_lshl_b64 s[2:3], s[2:3], 3
	v_lshlrev_b64 v[0:1], 3, v[0:1]
	s_waitcnt lgkmcnt(0)
	s_add_u32 s4, s8, s2
	s_addc_u32 s5, s9, s3
	s_load_dwordx2 s[4:5], s[4:5], 0x0
	s_lshl_b64 s[6:7], s[10:11], 3
	s_waitcnt lgkmcnt(0)
	s_add_u32 s0, s4, s6
	s_addc_u32 s4, s5, s7
	s_add_u32 s2, s12, s2
	s_addc_u32 s3, s13, s3
	s_load_dwordx2 s[2:3], s[2:3], 0x0
	v_mov_b32_e32 v2, s4
	s_lshl_b64 s[4:5], s[14:15], 3
	v_add_co_u32_e32 v8, vcc, s0, v0
	s_waitcnt lgkmcnt(0)
	s_add_u32 s0, s2, s4
	v_addc_co_u32_e32 v9, vcc, v2, v1, vcc
	s_addc_u32 s2, s3, s5
	v_mov_b32_e32 v2, s2
	v_add_co_u32_e32 v10, vcc, s0, v0
	v_addc_co_u32_e32 v11, vcc, v2, v1, vcc
	flat_load_dwordx4 v[0:3], v[8:9]
	flat_load_dwordx4 v[4:7], v[10:11]
	s_waitcnt vmcnt(0) lgkmcnt(0)
	v_pk_fma_f16 v3, s1, v3, v7 op_sel_hi:[0,1,1]
	v_pk_fma_f16 v2, s1, v2, v6 op_sel_hi:[0,1,1]
	;; [unrolled: 1-line block ×4, first 2 shown]
	flat_store_dwordx4 v[10:11], v[0:3]
.LBB64_3:
	s_endpgm
	.section	.rodata,"a",@progbits
	.p2align	6, 0x0
	.amdhsa_kernel _ZL26rocblas_haxpy_mlt_8_kernelILi256EDF16_PKPKdPKPdEviT0_lT1_llT2_lli
		.amdhsa_group_segment_fixed_size 0
		.amdhsa_private_segment_fixed_size 0
		.amdhsa_kernarg_size 68
		.amdhsa_user_sgpr_count 6
		.amdhsa_user_sgpr_private_segment_buffer 1
		.amdhsa_user_sgpr_dispatch_ptr 0
		.amdhsa_user_sgpr_queue_ptr 0
		.amdhsa_user_sgpr_kernarg_segment_ptr 1
		.amdhsa_user_sgpr_dispatch_id 0
		.amdhsa_user_sgpr_flat_scratch_init 0
		.amdhsa_user_sgpr_private_segment_size 0
		.amdhsa_uses_dynamic_stack 0
		.amdhsa_system_sgpr_private_segment_wavefront_offset 0
		.amdhsa_system_sgpr_workgroup_id_x 1
		.amdhsa_system_sgpr_workgroup_id_y 0
		.amdhsa_system_sgpr_workgroup_id_z 1
		.amdhsa_system_sgpr_workgroup_info 0
		.amdhsa_system_vgpr_workitem_id 0
		.amdhsa_next_free_vgpr 12
		.amdhsa_next_free_sgpr 16
		.amdhsa_reserve_vcc 1
		.amdhsa_reserve_flat_scratch 0
		.amdhsa_float_round_mode_32 0
		.amdhsa_float_round_mode_16_64 0
		.amdhsa_float_denorm_mode_32 3
		.amdhsa_float_denorm_mode_16_64 3
		.amdhsa_dx10_clamp 1
		.amdhsa_ieee_mode 1
		.amdhsa_fp16_overflow 0
		.amdhsa_exception_fp_ieee_invalid_op 0
		.amdhsa_exception_fp_denorm_src 0
		.amdhsa_exception_fp_ieee_div_zero 0
		.amdhsa_exception_fp_ieee_overflow 0
		.amdhsa_exception_fp_ieee_underflow 0
		.amdhsa_exception_fp_ieee_inexact 0
		.amdhsa_exception_int_div_zero 0
	.end_amdhsa_kernel
	.section	.text._ZL26rocblas_haxpy_mlt_8_kernelILi256EDF16_PKPKdPKPdEviT0_lT1_llT2_lli,"axG",@progbits,_ZL26rocblas_haxpy_mlt_8_kernelILi256EDF16_PKPKdPKPdEviT0_lT1_llT2_lli,comdat
.Lfunc_end64:
	.size	_ZL26rocblas_haxpy_mlt_8_kernelILi256EDF16_PKPKdPKPdEviT0_lT1_llT2_lli, .Lfunc_end64-_ZL26rocblas_haxpy_mlt_8_kernelILi256EDF16_PKPKdPKPdEviT0_lT1_llT2_lli
                                        ; -- End function
	.set _ZL26rocblas_haxpy_mlt_8_kernelILi256EDF16_PKPKdPKPdEviT0_lT1_llT2_lli.num_vgpr, 12
	.set _ZL26rocblas_haxpy_mlt_8_kernelILi256EDF16_PKPKdPKPdEviT0_lT1_llT2_lli.num_agpr, 0
	.set _ZL26rocblas_haxpy_mlt_8_kernelILi256EDF16_PKPKdPKPdEviT0_lT1_llT2_lli.numbered_sgpr, 16
	.set _ZL26rocblas_haxpy_mlt_8_kernelILi256EDF16_PKPKdPKPdEviT0_lT1_llT2_lli.num_named_barrier, 0
	.set _ZL26rocblas_haxpy_mlt_8_kernelILi256EDF16_PKPKdPKPdEviT0_lT1_llT2_lli.private_seg_size, 0
	.set _ZL26rocblas_haxpy_mlt_8_kernelILi256EDF16_PKPKdPKPdEviT0_lT1_llT2_lli.uses_vcc, 1
	.set _ZL26rocblas_haxpy_mlt_8_kernelILi256EDF16_PKPKdPKPdEviT0_lT1_llT2_lli.uses_flat_scratch, 0
	.set _ZL26rocblas_haxpy_mlt_8_kernelILi256EDF16_PKPKdPKPdEviT0_lT1_llT2_lli.has_dyn_sized_stack, 0
	.set _ZL26rocblas_haxpy_mlt_8_kernelILi256EDF16_PKPKdPKPdEviT0_lT1_llT2_lli.has_recursion, 0
	.set _ZL26rocblas_haxpy_mlt_8_kernelILi256EDF16_PKPKdPKPdEviT0_lT1_llT2_lli.has_indirect_call, 0
	.section	.AMDGPU.csdata,"",@progbits
; Kernel info:
; codeLenInByte = 264
; TotalNumSgprs: 20
; NumVgprs: 12
; ScratchSize: 0
; MemoryBound: 0
; FloatMode: 240
; IeeeMode: 1
; LDSByteSize: 0 bytes/workgroup (compile time only)
; SGPRBlocks: 2
; VGPRBlocks: 2
; NumSGPRsForWavesPerEU: 20
; NumVGPRsForWavesPerEU: 12
; Occupancy: 10
; WaveLimiterHint : 1
; COMPUTE_PGM_RSRC2:SCRATCH_EN: 0
; COMPUTE_PGM_RSRC2:USER_SGPR: 6
; COMPUTE_PGM_RSRC2:TRAP_HANDLER: 0
; COMPUTE_PGM_RSRC2:TGID_X_EN: 1
; COMPUTE_PGM_RSRC2:TGID_Y_EN: 0
; COMPUTE_PGM_RSRC2:TGID_Z_EN: 1
; COMPUTE_PGM_RSRC2:TIDIG_COMP_CNT: 0
	.section	.text._ZL26rocblas_haxpy_mod_8_kernelILi256EdPKPKdPKPdEviT0_lT1_llT2_lli,"axG",@progbits,_ZL26rocblas_haxpy_mod_8_kernelILi256EdPKPKdPKPdEviT0_lT1_llT2_lli,comdat
	.globl	_ZL26rocblas_haxpy_mod_8_kernelILi256EdPKPKdPKPdEviT0_lT1_llT2_lli ; -- Begin function _ZL26rocblas_haxpy_mod_8_kernelILi256EdPKPKdPKPdEviT0_lT1_llT2_lli
	.p2align	8
	.type	_ZL26rocblas_haxpy_mod_8_kernelILi256EdPKPKdPKPdEviT0_lT1_llT2_lli,@function
_ZL26rocblas_haxpy_mod_8_kernelILi256EdPKPKdPKPdEviT0_lT1_llT2_lli: ; @_ZL26rocblas_haxpy_mod_8_kernelILi256EdPKPKdPKPdEviT0_lT1_llT2_lli
; %bb.0:
	s_load_dwordx2 s[0:1], s[4:5], 0x8
	s_load_dword s8, s[4:5], 0x0
	v_lshl_or_b32 v0, s6, 8, v0
	v_mov_b32_e32 v1, 0
	s_mov_b32 s2, s7
	s_waitcnt lgkmcnt(0)
	v_cmp_neq_f64_e64 s[10:11], s[0:1], 0
	s_ashr_i32 s9, s8, 31
	v_cmp_gt_i64_e32 vcc, s[8:9], v[0:1]
	s_and_b64 s[6:7], s[10:11], vcc
	s_and_saveexec_b64 s[8:9], s[6:7]
	s_cbranch_execz .LBB65_2
; %bb.1:
	s_load_dwordx4 s[8:11], s[4:5], 0x18
	s_load_dwordx4 s[12:15], s[4:5], 0x30
	s_mov_b32 s3, 0
	s_lshl_b64 s[2:3], s[2:3], 3
	v_lshlrev_b64 v[0:1], 3, v[0:1]
	s_waitcnt lgkmcnt(0)
	s_add_u32 s4, s8, s2
	s_addc_u32 s5, s9, s3
	s_load_dwordx2 s[4:5], s[4:5], 0x0
	s_lshl_b64 s[6:7], s[10:11], 3
	s_waitcnt lgkmcnt(0)
	s_add_u32 s4, s4, s6
	s_addc_u32 s5, s5, s7
	s_add_u32 s2, s12, s2
	s_addc_u32 s3, s13, s3
	s_load_dwordx2 s[2:3], s[2:3], 0x0
	v_mov_b32_e32 v3, s5
	v_add_co_u32_e32 v2, vcc, s4, v0
	s_lshl_b64 s[4:5], s[14:15], 3
	s_waitcnt lgkmcnt(0)
	s_add_u32 s2, s2, s4
	v_addc_co_u32_e32 v3, vcc, v3, v1, vcc
	s_addc_u32 s3, s3, s5
	v_mov_b32_e32 v4, s3
	v_add_co_u32_e32 v0, vcc, s2, v0
	v_addc_co_u32_e32 v1, vcc, v4, v1, vcc
	flat_load_dwordx2 v[4:5], v[2:3]
	flat_load_dwordx2 v[6:7], v[0:1]
	s_waitcnt vmcnt(0) lgkmcnt(0)
	v_fma_f64 v[2:3], s[0:1], v[4:5], v[6:7]
	flat_store_dwordx2 v[0:1], v[2:3]
.LBB65_2:
	s_endpgm
	.section	.rodata,"a",@progbits
	.p2align	6, 0x0
	.amdhsa_kernel _ZL26rocblas_haxpy_mod_8_kernelILi256EdPKPKdPKPdEviT0_lT1_llT2_lli
		.amdhsa_group_segment_fixed_size 0
		.amdhsa_private_segment_fixed_size 0
		.amdhsa_kernarg_size 76
		.amdhsa_user_sgpr_count 6
		.amdhsa_user_sgpr_private_segment_buffer 1
		.amdhsa_user_sgpr_dispatch_ptr 0
		.amdhsa_user_sgpr_queue_ptr 0
		.amdhsa_user_sgpr_kernarg_segment_ptr 1
		.amdhsa_user_sgpr_dispatch_id 0
		.amdhsa_user_sgpr_flat_scratch_init 0
		.amdhsa_user_sgpr_private_segment_size 0
		.amdhsa_uses_dynamic_stack 0
		.amdhsa_system_sgpr_private_segment_wavefront_offset 0
		.amdhsa_system_sgpr_workgroup_id_x 1
		.amdhsa_system_sgpr_workgroup_id_y 0
		.amdhsa_system_sgpr_workgroup_id_z 1
		.amdhsa_system_sgpr_workgroup_info 0
		.amdhsa_system_vgpr_workitem_id 0
		.amdhsa_next_free_vgpr 8
		.amdhsa_next_free_sgpr 16
		.amdhsa_reserve_vcc 1
		.amdhsa_reserve_flat_scratch 0
		.amdhsa_float_round_mode_32 0
		.amdhsa_float_round_mode_16_64 0
		.amdhsa_float_denorm_mode_32 3
		.amdhsa_float_denorm_mode_16_64 3
		.amdhsa_dx10_clamp 1
		.amdhsa_ieee_mode 1
		.amdhsa_fp16_overflow 0
		.amdhsa_exception_fp_ieee_invalid_op 0
		.amdhsa_exception_fp_denorm_src 0
		.amdhsa_exception_fp_ieee_div_zero 0
		.amdhsa_exception_fp_ieee_overflow 0
		.amdhsa_exception_fp_ieee_underflow 0
		.amdhsa_exception_fp_ieee_inexact 0
		.amdhsa_exception_int_div_zero 0
	.end_amdhsa_kernel
	.section	.text._ZL26rocblas_haxpy_mod_8_kernelILi256EdPKPKdPKPdEviT0_lT1_llT2_lli,"axG",@progbits,_ZL26rocblas_haxpy_mod_8_kernelILi256EdPKPKdPKPdEviT0_lT1_llT2_lli,comdat
.Lfunc_end65:
	.size	_ZL26rocblas_haxpy_mod_8_kernelILi256EdPKPKdPKPdEviT0_lT1_llT2_lli, .Lfunc_end65-_ZL26rocblas_haxpy_mod_8_kernelILi256EdPKPKdPKPdEviT0_lT1_llT2_lli
                                        ; -- End function
	.set _ZL26rocblas_haxpy_mod_8_kernelILi256EdPKPKdPKPdEviT0_lT1_llT2_lli.num_vgpr, 8
	.set _ZL26rocblas_haxpy_mod_8_kernelILi256EdPKPKdPKPdEviT0_lT1_llT2_lli.num_agpr, 0
	.set _ZL26rocblas_haxpy_mod_8_kernelILi256EdPKPKdPKPdEviT0_lT1_llT2_lli.numbered_sgpr, 16
	.set _ZL26rocblas_haxpy_mod_8_kernelILi256EdPKPKdPKPdEviT0_lT1_llT2_lli.num_named_barrier, 0
	.set _ZL26rocblas_haxpy_mod_8_kernelILi256EdPKPKdPKPdEviT0_lT1_llT2_lli.private_seg_size, 0
	.set _ZL26rocblas_haxpy_mod_8_kernelILi256EdPKPKdPKPdEviT0_lT1_llT2_lli.uses_vcc, 1
	.set _ZL26rocblas_haxpy_mod_8_kernelILi256EdPKPKdPKPdEviT0_lT1_llT2_lli.uses_flat_scratch, 0
	.set _ZL26rocblas_haxpy_mod_8_kernelILi256EdPKPKdPKPdEviT0_lT1_llT2_lli.has_dyn_sized_stack, 0
	.set _ZL26rocblas_haxpy_mod_8_kernelILi256EdPKPKdPKPdEviT0_lT1_llT2_lli.has_recursion, 0
	.set _ZL26rocblas_haxpy_mod_8_kernelILi256EdPKPKdPKPdEviT0_lT1_llT2_lli.has_indirect_call, 0
	.section	.AMDGPU.csdata,"",@progbits
; Kernel info:
; codeLenInByte = 228
; TotalNumSgprs: 20
; NumVgprs: 8
; ScratchSize: 0
; MemoryBound: 0
; FloatMode: 240
; IeeeMode: 1
; LDSByteSize: 0 bytes/workgroup (compile time only)
; SGPRBlocks: 2
; VGPRBlocks: 1
; NumSGPRsForWavesPerEU: 20
; NumVGPRsForWavesPerEU: 8
; Occupancy: 10
; WaveLimiterHint : 1
; COMPUTE_PGM_RSRC2:SCRATCH_EN: 0
; COMPUTE_PGM_RSRC2:USER_SGPR: 6
; COMPUTE_PGM_RSRC2:TRAP_HANDLER: 0
; COMPUTE_PGM_RSRC2:TGID_X_EN: 1
; COMPUTE_PGM_RSRC2:TGID_Y_EN: 0
; COMPUTE_PGM_RSRC2:TGID_Z_EN: 1
; COMPUTE_PGM_RSRC2:TIDIG_COMP_CNT: 0
	.section	.text._ZL22rocblas_saxpy_2_kernelILi256EdPKdPKS1_PKPdEviT1_lT2_llT3_lli,"axG",@progbits,_ZL22rocblas_saxpy_2_kernelILi256EdPKdPKS1_PKPdEviT1_lT2_llT3_lli,comdat
	.globl	_ZL22rocblas_saxpy_2_kernelILi256EdPKdPKS1_PKPdEviT1_lT2_llT3_lli ; -- Begin function _ZL22rocblas_saxpy_2_kernelILi256EdPKdPKS1_PKPdEviT1_lT2_llT3_lli
	.p2align	8
	.type	_ZL22rocblas_saxpy_2_kernelILi256EdPKdPKS1_PKPdEviT1_lT2_llT3_lli,@function
_ZL22rocblas_saxpy_2_kernelILi256EdPKdPKS1_PKPdEviT1_lT2_llT3_lli: ; @_ZL22rocblas_saxpy_2_kernelILi256EdPKdPKS1_PKPdEviT1_lT2_llT3_lli
; %bb.0:
	s_load_dwordx4 s[8:11], s[4:5], 0x8
	s_waitcnt lgkmcnt(0)
	s_mul_i32 s0, s11, s7
	s_mul_hi_u32 s1, s10, s7
	s_add_i32 s1, s1, s0
	s_mul_i32 s0, s10, s7
	s_lshl_b64 s[0:1], s[0:1], 3
	s_add_u32 s0, s8, s0
	s_addc_u32 s1, s9, s1
	s_load_dwordx2 s[0:1], s[0:1], 0x0
	s_waitcnt lgkmcnt(0)
	v_cmp_eq_f64_e64 s[8:9], s[0:1], 0
	s_and_b64 vcc, exec, s[8:9]
	s_cbranch_vccnz .LBB66_5
; %bb.1:
	s_load_dwordx4 s[12:15], s[4:5], 0x18
	s_load_dword s9, s[4:5], 0x0
	s_mov_b32 s2, s7
	s_mov_b32 s3, 0
	s_lshl_b64 s[2:3], s[2:3], 3
	s_waitcnt lgkmcnt(0)
	s_add_u32 s10, s12, s2
	s_addc_u32 s11, s13, s3
	s_load_dwordx2 s[12:13], s[10:11], 0x0
	s_load_dwordx4 s[16:19], s[4:5], 0x30
	s_lshl_b64 s[4:5], s[14:15], 3
	v_lshlrev_b32_e32 v0, 1, v0
	v_lshl_or_b32 v2, s6, 9, v0
	s_waitcnt lgkmcnt(0)
	s_add_u32 s7, s12, s4
	s_addc_u32 s8, s13, s5
	s_add_u32 s2, s16, s2
	s_addc_u32 s3, s17, s3
	s_load_dwordx2 s[2:3], s[2:3], 0x0
	s_lshl_b64 s[4:5], s[18:19], 3
	v_mov_b32_e32 v3, 0
	v_lshlrev_b64 v[0:1], 3, v[2:3]
	s_waitcnt lgkmcnt(0)
	s_add_u32 s6, s2, s4
	s_addc_u32 s10, s3, s5
	s_add_i32 s2, s9, -1
	s_ashr_i32 s3, s2, 31
	v_cmp_gt_i64_e32 vcc, s[2:3], v[2:3]
	s_and_saveexec_b64 s[4:5], vcc
	s_cbranch_execz .LBB66_3
; %bb.2:
	v_mov_b32_e32 v4, s10
	v_add_co_u32_e32 v8, vcc, s6, v0
	v_addc_co_u32_e32 v9, vcc, v4, v1, vcc
	v_mov_b32_e32 v11, s8
	v_add_co_u32_e32 v10, vcc, s7, v0
	v_addc_co_u32_e32 v11, vcc, v11, v1, vcc
	flat_load_dwordx4 v[4:7], v[8:9]
	flat_load_dwordx2 v[12:13], v[10:11]
	s_waitcnt vmcnt(0) lgkmcnt(0)
	v_fma_f64 v[4:5], s[0:1], v[12:13], v[4:5]
	flat_store_dwordx2 v[8:9], v[4:5]
	flat_load_dwordx2 v[4:5], v[10:11] offset:8
	s_waitcnt vmcnt(0) lgkmcnt(0)
	v_fma_f64 v[4:5], s[0:1], v[4:5], v[6:7]
	flat_store_dwordx2 v[8:9], v[4:5] offset:8
.LBB66_3:
	s_or_b64 exec, exec, s[4:5]
	s_bitcmp1_b32 s9, 0
	v_cmp_eq_u64_e32 vcc, s[2:3], v[2:3]
	s_cselect_b64 s[2:3], -1, 0
	s_and_b64 s[2:3], s[2:3], vcc
	s_and_saveexec_b64 s[4:5], s[2:3]
	s_cbranch_execz .LBB66_5
; %bb.4:
	v_mov_b32_e32 v3, s10
	v_add_co_u32_e32 v2, vcc, s6, v0
	v_addc_co_u32_e32 v3, vcc, v3, v1, vcc
	v_mov_b32_e32 v6, s8
	v_add_co_u32_e32 v0, vcc, s7, v0
	v_addc_co_u32_e32 v1, vcc, v6, v1, vcc
	flat_load_dwordx2 v[4:5], v[2:3]
	s_nop 0
	flat_load_dwordx2 v[0:1], v[0:1]
	s_waitcnt vmcnt(0) lgkmcnt(0)
	v_fma_f64 v[0:1], s[0:1], v[0:1], v[4:5]
	flat_store_dwordx2 v[2:3], v[0:1]
.LBB66_5:
	s_endpgm
	.section	.rodata,"a",@progbits
	.p2align	6, 0x0
	.amdhsa_kernel _ZL22rocblas_saxpy_2_kernelILi256EdPKdPKS1_PKPdEviT1_lT2_llT3_lli
		.amdhsa_group_segment_fixed_size 0
		.amdhsa_private_segment_fixed_size 0
		.amdhsa_kernarg_size 76
		.amdhsa_user_sgpr_count 6
		.amdhsa_user_sgpr_private_segment_buffer 1
		.amdhsa_user_sgpr_dispatch_ptr 0
		.amdhsa_user_sgpr_queue_ptr 0
		.amdhsa_user_sgpr_kernarg_segment_ptr 1
		.amdhsa_user_sgpr_dispatch_id 0
		.amdhsa_user_sgpr_flat_scratch_init 0
		.amdhsa_user_sgpr_private_segment_size 0
		.amdhsa_uses_dynamic_stack 0
		.amdhsa_system_sgpr_private_segment_wavefront_offset 0
		.amdhsa_system_sgpr_workgroup_id_x 1
		.amdhsa_system_sgpr_workgroup_id_y 0
		.amdhsa_system_sgpr_workgroup_id_z 1
		.amdhsa_system_sgpr_workgroup_info 0
		.amdhsa_system_vgpr_workitem_id 0
		.amdhsa_next_free_vgpr 14
		.amdhsa_next_free_sgpr 20
		.amdhsa_reserve_vcc 1
		.amdhsa_reserve_flat_scratch 0
		.amdhsa_float_round_mode_32 0
		.amdhsa_float_round_mode_16_64 0
		.amdhsa_float_denorm_mode_32 3
		.amdhsa_float_denorm_mode_16_64 3
		.amdhsa_dx10_clamp 1
		.amdhsa_ieee_mode 1
		.amdhsa_fp16_overflow 0
		.amdhsa_exception_fp_ieee_invalid_op 0
		.amdhsa_exception_fp_denorm_src 0
		.amdhsa_exception_fp_ieee_div_zero 0
		.amdhsa_exception_fp_ieee_overflow 0
		.amdhsa_exception_fp_ieee_underflow 0
		.amdhsa_exception_fp_ieee_inexact 0
		.amdhsa_exception_int_div_zero 0
	.end_amdhsa_kernel
	.section	.text._ZL22rocblas_saxpy_2_kernelILi256EdPKdPKS1_PKPdEviT1_lT2_llT3_lli,"axG",@progbits,_ZL22rocblas_saxpy_2_kernelILi256EdPKdPKS1_PKPdEviT1_lT2_llT3_lli,comdat
.Lfunc_end66:
	.size	_ZL22rocblas_saxpy_2_kernelILi256EdPKdPKS1_PKPdEviT1_lT2_llT3_lli, .Lfunc_end66-_ZL22rocblas_saxpy_2_kernelILi256EdPKdPKS1_PKPdEviT1_lT2_llT3_lli
                                        ; -- End function
	.set _ZL22rocblas_saxpy_2_kernelILi256EdPKdPKS1_PKPdEviT1_lT2_llT3_lli.num_vgpr, 14
	.set _ZL22rocblas_saxpy_2_kernelILi256EdPKdPKS1_PKPdEviT1_lT2_llT3_lli.num_agpr, 0
	.set _ZL22rocblas_saxpy_2_kernelILi256EdPKdPKS1_PKPdEviT1_lT2_llT3_lli.numbered_sgpr, 20
	.set _ZL22rocblas_saxpy_2_kernelILi256EdPKdPKS1_PKPdEviT1_lT2_llT3_lli.num_named_barrier, 0
	.set _ZL22rocblas_saxpy_2_kernelILi256EdPKdPKS1_PKPdEviT1_lT2_llT3_lli.private_seg_size, 0
	.set _ZL22rocblas_saxpy_2_kernelILi256EdPKdPKS1_PKPdEviT1_lT2_llT3_lli.uses_vcc, 1
	.set _ZL22rocblas_saxpy_2_kernelILi256EdPKdPKS1_PKPdEviT1_lT2_llT3_lli.uses_flat_scratch, 0
	.set _ZL22rocblas_saxpy_2_kernelILi256EdPKdPKS1_PKPdEviT1_lT2_llT3_lli.has_dyn_sized_stack, 0
	.set _ZL22rocblas_saxpy_2_kernelILi256EdPKdPKS1_PKPdEviT1_lT2_llT3_lli.has_recursion, 0
	.set _ZL22rocblas_saxpy_2_kernelILi256EdPKdPKS1_PKPdEviT1_lT2_llT3_lli.has_indirect_call, 0
	.section	.AMDGPU.csdata,"",@progbits
; Kernel info:
; codeLenInByte = 400
; TotalNumSgprs: 24
; NumVgprs: 14
; ScratchSize: 0
; MemoryBound: 0
; FloatMode: 240
; IeeeMode: 1
; LDSByteSize: 0 bytes/workgroup (compile time only)
; SGPRBlocks: 2
; VGPRBlocks: 3
; NumSGPRsForWavesPerEU: 24
; NumVGPRsForWavesPerEU: 14
; Occupancy: 10
; WaveLimiterHint : 1
; COMPUTE_PGM_RSRC2:SCRATCH_EN: 0
; COMPUTE_PGM_RSRC2:USER_SGPR: 6
; COMPUTE_PGM_RSRC2:TRAP_HANDLER: 0
; COMPUTE_PGM_RSRC2:TGID_X_EN: 1
; COMPUTE_PGM_RSRC2:TGID_Y_EN: 0
; COMPUTE_PGM_RSRC2:TGID_Z_EN: 1
; COMPUTE_PGM_RSRC2:TIDIG_COMP_CNT: 0
	.section	.text._ZL22rocblas_saxpy_2_kernelILi256EddPKPKdPKPdEviT1_lT2_llT3_lli,"axG",@progbits,_ZL22rocblas_saxpy_2_kernelILi256EddPKPKdPKPdEviT1_lT2_llT3_lli,comdat
	.globl	_ZL22rocblas_saxpy_2_kernelILi256EddPKPKdPKPdEviT1_lT2_llT3_lli ; -- Begin function _ZL22rocblas_saxpy_2_kernelILi256EddPKPKdPKPdEviT1_lT2_llT3_lli
	.p2align	8
	.type	_ZL22rocblas_saxpy_2_kernelILi256EddPKPKdPKPdEviT1_lT2_llT3_lli,@function
_ZL22rocblas_saxpy_2_kernelILi256EddPKPKdPKPdEviT1_lT2_llT3_lli: ; @_ZL22rocblas_saxpy_2_kernelILi256EddPKPKdPKPdEviT1_lT2_llT3_lli
; %bb.0:
	s_load_dwordx2 s[0:1], s[4:5], 0x8
	s_waitcnt lgkmcnt(0)
	v_cmp_eq_f64_e64 s[8:9], s[0:1], 0
	s_and_b64 vcc, exec, s[8:9]
	s_cbranch_vccnz .LBB67_5
; %bb.1:
	s_load_dwordx4 s[12:15], s[4:5], 0x18
	s_load_dword s8, s[4:5], 0x0
	s_mov_b32 s2, s7
	s_mov_b32 s3, 0
	s_lshl_b64 s[2:3], s[2:3], 3
	s_waitcnt lgkmcnt(0)
	s_add_u32 s10, s12, s2
	s_addc_u32 s11, s13, s3
	s_load_dwordx2 s[12:13], s[10:11], 0x0
	s_load_dwordx4 s[16:19], s[4:5], 0x30
	s_lshl_b64 s[4:5], s[14:15], 3
	v_lshlrev_b32_e32 v0, 1, v0
	v_lshl_or_b32 v2, s6, 9, v0
	s_waitcnt lgkmcnt(0)
	s_add_u32 s7, s12, s4
	s_addc_u32 s9, s13, s5
	s_add_u32 s2, s16, s2
	s_addc_u32 s3, s17, s3
	s_load_dwordx2 s[2:3], s[2:3], 0x0
	s_lshl_b64 s[4:5], s[18:19], 3
	v_mov_b32_e32 v3, 0
	v_lshlrev_b64 v[0:1], 3, v[2:3]
	s_waitcnt lgkmcnt(0)
	s_add_u32 s6, s2, s4
	s_addc_u32 s10, s3, s5
	s_add_i32 s2, s8, -1
	s_ashr_i32 s3, s2, 31
	v_cmp_gt_i64_e32 vcc, s[2:3], v[2:3]
	s_and_saveexec_b64 s[4:5], vcc
	s_cbranch_execz .LBB67_3
; %bb.2:
	v_mov_b32_e32 v4, s10
	v_add_co_u32_e32 v8, vcc, s6, v0
	v_addc_co_u32_e32 v9, vcc, v4, v1, vcc
	v_mov_b32_e32 v11, s9
	v_add_co_u32_e32 v10, vcc, s7, v0
	v_addc_co_u32_e32 v11, vcc, v11, v1, vcc
	flat_load_dwordx4 v[4:7], v[8:9]
	flat_load_dwordx2 v[12:13], v[10:11]
	s_waitcnt vmcnt(0) lgkmcnt(0)
	v_fma_f64 v[4:5], s[0:1], v[12:13], v[4:5]
	flat_store_dwordx2 v[8:9], v[4:5]
	flat_load_dwordx2 v[4:5], v[10:11] offset:8
	s_waitcnt vmcnt(0) lgkmcnt(0)
	v_fma_f64 v[4:5], s[0:1], v[4:5], v[6:7]
	flat_store_dwordx2 v[8:9], v[4:5] offset:8
.LBB67_3:
	s_or_b64 exec, exec, s[4:5]
	s_bitcmp1_b32 s8, 0
	v_cmp_eq_u64_e32 vcc, s[2:3], v[2:3]
	s_cselect_b64 s[2:3], -1, 0
	s_and_b64 s[2:3], s[2:3], vcc
	s_and_saveexec_b64 s[4:5], s[2:3]
	s_cbranch_execz .LBB67_5
; %bb.4:
	v_mov_b32_e32 v3, s10
	v_add_co_u32_e32 v2, vcc, s6, v0
	v_addc_co_u32_e32 v3, vcc, v3, v1, vcc
	v_mov_b32_e32 v6, s9
	v_add_co_u32_e32 v0, vcc, s7, v0
	v_addc_co_u32_e32 v1, vcc, v6, v1, vcc
	flat_load_dwordx2 v[4:5], v[2:3]
	s_nop 0
	flat_load_dwordx2 v[0:1], v[0:1]
	s_waitcnt vmcnt(0) lgkmcnt(0)
	v_fma_f64 v[0:1], s[0:1], v[0:1], v[4:5]
	flat_store_dwordx2 v[2:3], v[0:1]
.LBB67_5:
	s_endpgm
	.section	.rodata,"a",@progbits
	.p2align	6, 0x0
	.amdhsa_kernel _ZL22rocblas_saxpy_2_kernelILi256EddPKPKdPKPdEviT1_lT2_llT3_lli
		.amdhsa_group_segment_fixed_size 0
		.amdhsa_private_segment_fixed_size 0
		.amdhsa_kernarg_size 76
		.amdhsa_user_sgpr_count 6
		.amdhsa_user_sgpr_private_segment_buffer 1
		.amdhsa_user_sgpr_dispatch_ptr 0
		.amdhsa_user_sgpr_queue_ptr 0
		.amdhsa_user_sgpr_kernarg_segment_ptr 1
		.amdhsa_user_sgpr_dispatch_id 0
		.amdhsa_user_sgpr_flat_scratch_init 0
		.amdhsa_user_sgpr_private_segment_size 0
		.amdhsa_uses_dynamic_stack 0
		.amdhsa_system_sgpr_private_segment_wavefront_offset 0
		.amdhsa_system_sgpr_workgroup_id_x 1
		.amdhsa_system_sgpr_workgroup_id_y 0
		.amdhsa_system_sgpr_workgroup_id_z 1
		.amdhsa_system_sgpr_workgroup_info 0
		.amdhsa_system_vgpr_workitem_id 0
		.amdhsa_next_free_vgpr 14
		.amdhsa_next_free_sgpr 20
		.amdhsa_reserve_vcc 1
		.amdhsa_reserve_flat_scratch 0
		.amdhsa_float_round_mode_32 0
		.amdhsa_float_round_mode_16_64 0
		.amdhsa_float_denorm_mode_32 3
		.amdhsa_float_denorm_mode_16_64 3
		.amdhsa_dx10_clamp 1
		.amdhsa_ieee_mode 1
		.amdhsa_fp16_overflow 0
		.amdhsa_exception_fp_ieee_invalid_op 0
		.amdhsa_exception_fp_denorm_src 0
		.amdhsa_exception_fp_ieee_div_zero 0
		.amdhsa_exception_fp_ieee_overflow 0
		.amdhsa_exception_fp_ieee_underflow 0
		.amdhsa_exception_fp_ieee_inexact 0
		.amdhsa_exception_int_div_zero 0
	.end_amdhsa_kernel
	.section	.text._ZL22rocblas_saxpy_2_kernelILi256EddPKPKdPKPdEviT1_lT2_llT3_lli,"axG",@progbits,_ZL22rocblas_saxpy_2_kernelILi256EddPKPKdPKPdEviT1_lT2_llT3_lli,comdat
.Lfunc_end67:
	.size	_ZL22rocblas_saxpy_2_kernelILi256EddPKPKdPKPdEviT1_lT2_llT3_lli, .Lfunc_end67-_ZL22rocblas_saxpy_2_kernelILi256EddPKPKdPKPdEviT1_lT2_llT3_lli
                                        ; -- End function
	.set _ZL22rocblas_saxpy_2_kernelILi256EddPKPKdPKPdEviT1_lT2_llT3_lli.num_vgpr, 14
	.set _ZL22rocblas_saxpy_2_kernelILi256EddPKPKdPKPdEviT1_lT2_llT3_lli.num_agpr, 0
	.set _ZL22rocblas_saxpy_2_kernelILi256EddPKPKdPKPdEviT1_lT2_llT3_lli.numbered_sgpr, 20
	.set _ZL22rocblas_saxpy_2_kernelILi256EddPKPKdPKPdEviT1_lT2_llT3_lli.num_named_barrier, 0
	.set _ZL22rocblas_saxpy_2_kernelILi256EddPKPKdPKPdEviT1_lT2_llT3_lli.private_seg_size, 0
	.set _ZL22rocblas_saxpy_2_kernelILi256EddPKPKdPKPdEviT1_lT2_llT3_lli.uses_vcc, 1
	.set _ZL22rocblas_saxpy_2_kernelILi256EddPKPKdPKPdEviT1_lT2_llT3_lli.uses_flat_scratch, 0
	.set _ZL22rocblas_saxpy_2_kernelILi256EddPKPKdPKPdEviT1_lT2_llT3_lli.has_dyn_sized_stack, 0
	.set _ZL22rocblas_saxpy_2_kernelILi256EddPKPKdPKPdEviT1_lT2_llT3_lli.has_recursion, 0
	.set _ZL22rocblas_saxpy_2_kernelILi256EddPKPKdPKPdEviT1_lT2_llT3_lli.has_indirect_call, 0
	.section	.AMDGPU.csdata,"",@progbits
; Kernel info:
; codeLenInByte = 360
; TotalNumSgprs: 24
; NumVgprs: 14
; ScratchSize: 0
; MemoryBound: 0
; FloatMode: 240
; IeeeMode: 1
; LDSByteSize: 0 bytes/workgroup (compile time only)
; SGPRBlocks: 2
; VGPRBlocks: 3
; NumSGPRsForWavesPerEU: 24
; NumVGPRsForWavesPerEU: 14
; Occupancy: 10
; WaveLimiterHint : 1
; COMPUTE_PGM_RSRC2:SCRATCH_EN: 0
; COMPUTE_PGM_RSRC2:USER_SGPR: 6
; COMPUTE_PGM_RSRC2:TRAP_HANDLER: 0
; COMPUTE_PGM_RSRC2:TGID_X_EN: 1
; COMPUTE_PGM_RSRC2:TGID_Y_EN: 0
; COMPUTE_PGM_RSRC2:TGID_Z_EN: 1
; COMPUTE_PGM_RSRC2:TIDIG_COMP_CNT: 0
	.section	.text._ZL27rocblas_axpy_kernel_batchedIiLi128ELi8EdPKdPKS1_PKPdEviT3_lT4_lT_lT5_lS9_li,"axG",@progbits,_ZL27rocblas_axpy_kernel_batchedIiLi128ELi8EdPKdPKS1_PKPdEviT3_lT4_lT_lT5_lS9_li,comdat
	.globl	_ZL27rocblas_axpy_kernel_batchedIiLi128ELi8EdPKdPKS1_PKPdEviT3_lT4_lT_lT5_lS9_li ; -- Begin function _ZL27rocblas_axpy_kernel_batchedIiLi128ELi8EdPKdPKS1_PKPdEviT3_lT4_lT_lT5_lS9_li
	.p2align	8
	.type	_ZL27rocblas_axpy_kernel_batchedIiLi128ELi8EdPKdPKS1_PKPdEviT3_lT4_lT_lT5_lS9_li,@function
_ZL27rocblas_axpy_kernel_batchedIiLi128ELi8EdPKdPKS1_PKPdEviT3_lT4_lT_lT5_lS9_li: ; @_ZL27rocblas_axpy_kernel_batchedIiLi128ELi8EdPKdPKS1_PKPdEviT3_lT4_lT_lT5_lS9_li
; %bb.0:
	s_load_dword s0, s[4:5], 0x0
	v_lshl_add_u32 v6, s6, 7, v0
	v_mov_b32_e32 v7, 0
	s_waitcnt lgkmcnt(0)
	s_ashr_i32 s1, s0, 31
	v_cmp_gt_i64_e32 vcc, s[0:1], v[6:7]
	s_and_saveexec_b64 s[0:1], vcc
	s_cbranch_execz .LBB68_13
; %bb.1:
	s_load_dword s16, s[4:5], 0x28
	s_load_dwordx8 s[8:15], s[4:5], 0x8
	s_load_dwordx4 s[0:3], s[4:5], 0x38
	s_load_dword s17, s[4:5], 0x48
	s_load_dword s6, s[4:5], 0x58
	s_waitcnt lgkmcnt(0)
	v_mad_u64_u32 v[2:3], s[4:5], s16, v6, 0
	s_ashr_i32 s18, s16, 31
	v_mad_u64_u32 v[4:5], s[4:5], s17, v6, 0
	v_mov_b32_e32 v0, v3
	s_ashr_i32 s16, s17, 31
	v_mad_u64_u32 v[7:8], s[4:5], s18, v6, v[0:1]
	v_mov_b32_e32 v0, v5
	v_mad_u64_u32 v[5:6], s[4:5], s16, v6, v[0:1]
	v_lshlrev_b32_e32 v0, 2, v1
	v_lshl_add_u32 v0, s7, 5, v0
	v_mov_b32_e32 v3, v7
	v_cmp_gt_u32_e32 vcc, s6, v0
	s_and_saveexec_b64 s[4:5], vcc
	s_cbranch_execz .LBB68_4
; %bb.2:
	v_mad_u64_u32 v[6:7], s[16:17], s10, v0, 0
	v_mov_b32_e32 v1, v7
	v_mad_u64_u32 v[7:8], s[16:17], s11, v0, v[1:2]
	v_mov_b32_e32 v1, s9
	v_lshlrev_b64 v[6:7], 3, v[6:7]
	v_add_co_u32_e32 v6, vcc, s8, v6
	v_addc_co_u32_e32 v7, vcc, v1, v7, vcc
	global_load_dwordx2 v[6:7], v[6:7], off
	s_waitcnt vmcnt(0)
	v_cmp_neq_f64_e32 vcc, 0, v[6:7]
	s_and_b64 exec, exec, vcc
	s_cbranch_execz .LBB68_4
; %bb.3:
	v_mov_b32_e32 v1, 0
	v_lshlrev_b64 v[8:9], 3, v[0:1]
	v_mov_b32_e32 v1, s13
	v_add_co_u32_e32 v10, vcc, s12, v8
	v_addc_co_u32_e32 v11, vcc, v1, v9, vcc
	global_load_dwordx2 v[10:11], v[10:11], off
	v_mov_b32_e32 v1, s1
	v_add_co_u32_e32 v8, vcc, s0, v8
	v_addc_co_u32_e32 v9, vcc, v1, v9, vcc
	global_load_dwordx2 v[8:9], v[8:9], off
	s_lshl_b64 s[16:17], s[14:15], 3
	v_mov_b32_e32 v1, s17
	s_lshl_b64 s[18:19], s[2:3], 3
	v_lshlrev_b64 v[12:13], 3, v[2:3]
	v_mov_b32_e32 v16, s19
	v_lshlrev_b64 v[14:15], 3, v[4:5]
	s_waitcnt vmcnt(1)
	v_add_co_u32_e32 v10, vcc, s16, v10
	v_addc_co_u32_e32 v1, vcc, v11, v1, vcc
	s_waitcnt vmcnt(0)
	v_add_co_u32_e32 v11, vcc, s18, v8
	v_addc_co_u32_e32 v16, vcc, v9, v16, vcc
	v_add_co_u32_e32 v8, vcc, v10, v12
	v_addc_co_u32_e32 v9, vcc, v1, v13, vcc
	;; [unrolled: 2-line block ×3, first 2 shown]
	flat_load_dwordx2 v[12:13], v[10:11]
	flat_load_dwordx2 v[14:15], v[8:9]
	s_waitcnt vmcnt(0) lgkmcnt(0)
	v_fma_f64 v[6:7], v[6:7], v[14:15], v[12:13]
	flat_store_dwordx2 v[10:11], v[6:7]
.LBB68_4:
	s_or_b64 exec, exec, s[4:5]
	v_or_b32_e32 v1, 1, v0
	v_cmp_gt_u32_e32 vcc, s6, v1
	s_and_saveexec_b64 s[4:5], vcc
	s_cbranch_execz .LBB68_7
; %bb.5:
	v_mad_u64_u32 v[6:7], s[16:17], s10, v1, 0
	v_mad_u64_u32 v[7:8], s[16:17], s11, v1, v[7:8]
	v_mov_b32_e32 v1, s9
	v_lshlrev_b64 v[6:7], 3, v[6:7]
	v_add_co_u32_e32 v6, vcc, s8, v6
	v_addc_co_u32_e32 v7, vcc, v1, v7, vcc
	global_load_dwordx2 v[6:7], v[6:7], off
	s_waitcnt vmcnt(0)
	v_cmp_neq_f64_e32 vcc, 0, v[6:7]
	s_and_b64 exec, exec, vcc
	s_cbranch_execz .LBB68_7
; %bb.6:
	v_mov_b32_e32 v1, 0
	v_lshlrev_b64 v[8:9], 3, v[0:1]
	v_mov_b32_e32 v1, s13
	v_add_co_u32_e32 v10, vcc, s12, v8
	v_addc_co_u32_e32 v11, vcc, v1, v9, vcc
	global_load_dwordx2 v[10:11], v[10:11], off offset:8
	v_mov_b32_e32 v1, s1
	v_add_co_u32_e32 v8, vcc, s0, v8
	v_addc_co_u32_e32 v9, vcc, v1, v9, vcc
	global_load_dwordx2 v[8:9], v[8:9], off offset:8
	s_lshl_b64 s[16:17], s[14:15], 3
	v_mov_b32_e32 v1, s17
	s_lshl_b64 s[18:19], s[2:3], 3
	v_lshlrev_b64 v[12:13], 3, v[2:3]
	v_mov_b32_e32 v16, s19
	v_lshlrev_b64 v[14:15], 3, v[4:5]
	s_waitcnt vmcnt(0)
	v_add_co_u32_e32 v10, vcc, s16, v10
	v_addc_co_u32_e32 v1, vcc, v11, v1, vcc
	v_add_co_u32_e32 v11, vcc, s18, v8
	v_addc_co_u32_e32 v16, vcc, v9, v16, vcc
	;; [unrolled: 2-line block ×4, first 2 shown]
	flat_load_dwordx2 v[12:13], v[10:11]
	flat_load_dwordx2 v[14:15], v[8:9]
	s_waitcnt vmcnt(0) lgkmcnt(0)
	v_fma_f64 v[6:7], v[6:7], v[14:15], v[12:13]
	flat_store_dwordx2 v[10:11], v[6:7]
.LBB68_7:
	s_or_b64 exec, exec, s[4:5]
	v_or_b32_e32 v1, 2, v0
	v_cmp_gt_u32_e32 vcc, s6, v1
	s_and_saveexec_b64 s[4:5], vcc
	s_cbranch_execz .LBB68_10
; %bb.8:
	v_mad_u64_u32 v[6:7], s[16:17], s10, v1, 0
	v_mad_u64_u32 v[7:8], s[16:17], s11, v1, v[7:8]
	v_mov_b32_e32 v1, s9
	v_lshlrev_b64 v[6:7], 3, v[6:7]
	v_add_co_u32_e32 v6, vcc, s8, v6
	v_addc_co_u32_e32 v7, vcc, v1, v7, vcc
	global_load_dwordx2 v[6:7], v[6:7], off
	s_waitcnt vmcnt(0)
	v_cmp_neq_f64_e32 vcc, 0, v[6:7]
	s_and_b64 exec, exec, vcc
	s_cbranch_execz .LBB68_10
; %bb.9:
	v_mov_b32_e32 v1, 0
	v_lshlrev_b64 v[8:9], 3, v[0:1]
	v_mov_b32_e32 v1, s13
	v_add_co_u32_e32 v10, vcc, s12, v8
	v_addc_co_u32_e32 v11, vcc, v1, v9, vcc
	global_load_dwordx2 v[10:11], v[10:11], off offset:16
	v_mov_b32_e32 v1, s1
	v_add_co_u32_e32 v8, vcc, s0, v8
	v_addc_co_u32_e32 v9, vcc, v1, v9, vcc
	global_load_dwordx2 v[8:9], v[8:9], off offset:16
	s_lshl_b64 s[16:17], s[14:15], 3
	v_mov_b32_e32 v1, s17
	s_lshl_b64 s[18:19], s[2:3], 3
	v_lshlrev_b64 v[12:13], 3, v[2:3]
	v_mov_b32_e32 v16, s19
	v_lshlrev_b64 v[14:15], 3, v[4:5]
	s_waitcnt vmcnt(0)
	v_add_co_u32_e32 v10, vcc, s16, v10
	v_addc_co_u32_e32 v1, vcc, v11, v1, vcc
	v_add_co_u32_e32 v11, vcc, s18, v8
	v_addc_co_u32_e32 v16, vcc, v9, v16, vcc
	;; [unrolled: 2-line block ×4, first 2 shown]
	flat_load_dwordx2 v[12:13], v[10:11]
	flat_load_dwordx2 v[14:15], v[8:9]
	s_waitcnt vmcnt(0) lgkmcnt(0)
	v_fma_f64 v[6:7], v[6:7], v[14:15], v[12:13]
	flat_store_dwordx2 v[10:11], v[6:7]
.LBB68_10:
	s_or_b64 exec, exec, s[4:5]
	v_or_b32_e32 v1, 3, v0
	v_cmp_gt_u32_e32 vcc, s6, v1
	s_and_b64 exec, exec, vcc
	s_cbranch_execz .LBB68_13
; %bb.11:
	v_mad_u64_u32 v[6:7], s[4:5], s10, v1, 0
	v_mad_u64_u32 v[7:8], s[4:5], s11, v1, v[7:8]
	v_mov_b32_e32 v1, s9
	v_lshlrev_b64 v[6:7], 3, v[6:7]
	v_add_co_u32_e32 v6, vcc, s8, v6
	v_addc_co_u32_e32 v7, vcc, v1, v7, vcc
	global_load_dwordx2 v[6:7], v[6:7], off
	s_waitcnt vmcnt(0)
	v_cmp_neq_f64_e32 vcc, 0, v[6:7]
	s_and_b64 exec, exec, vcc
	s_cbranch_execz .LBB68_13
; %bb.12:
	v_mov_b32_e32 v1, 0
	v_lshlrev_b64 v[0:1], 3, v[0:1]
	v_mov_b32_e32 v9, s13
	v_add_co_u32_e32 v8, vcc, s12, v0
	v_addc_co_u32_e32 v9, vcc, v9, v1, vcc
	global_load_dwordx2 v[8:9], v[8:9], off offset:24
	v_mov_b32_e32 v10, s1
	v_add_co_u32_e32 v0, vcc, s0, v0
	v_addc_co_u32_e32 v1, vcc, v10, v1, vcc
	global_load_dwordx2 v[0:1], v[0:1], off offset:24
	s_lshl_b64 s[0:1], s[14:15], 3
	v_mov_b32_e32 v10, s1
	s_lshl_b64 s[2:3], s[2:3], 3
	v_lshlrev_b64 v[2:3], 3, v[2:3]
	v_mov_b32_e32 v11, s3
	v_lshlrev_b64 v[4:5], 3, v[4:5]
	s_waitcnt vmcnt(0)
	v_add_co_u32_e32 v8, vcc, s0, v8
	v_addc_co_u32_e32 v9, vcc, v9, v10, vcc
	v_add_co_u32_e32 v10, vcc, s2, v0
	v_addc_co_u32_e32 v11, vcc, v1, v11, vcc
	;; [unrolled: 2-line block ×4, first 2 shown]
	flat_load_dwordx2 v[4:5], v[2:3]
	flat_load_dwordx2 v[8:9], v[0:1]
	s_waitcnt vmcnt(0) lgkmcnt(0)
	v_fma_f64 v[0:1], v[6:7], v[8:9], v[4:5]
	flat_store_dwordx2 v[2:3], v[0:1]
.LBB68_13:
	s_endpgm
	.section	.rodata,"a",@progbits
	.p2align	6, 0x0
	.amdhsa_kernel _ZL27rocblas_axpy_kernel_batchedIiLi128ELi8EdPKdPKS1_PKPdEviT3_lT4_lT_lT5_lS9_li
		.amdhsa_group_segment_fixed_size 0
		.amdhsa_private_segment_fixed_size 0
		.amdhsa_kernarg_size 92
		.amdhsa_user_sgpr_count 6
		.amdhsa_user_sgpr_private_segment_buffer 1
		.amdhsa_user_sgpr_dispatch_ptr 0
		.amdhsa_user_sgpr_queue_ptr 0
		.amdhsa_user_sgpr_kernarg_segment_ptr 1
		.amdhsa_user_sgpr_dispatch_id 0
		.amdhsa_user_sgpr_flat_scratch_init 0
		.amdhsa_user_sgpr_private_segment_size 0
		.amdhsa_uses_dynamic_stack 0
		.amdhsa_system_sgpr_private_segment_wavefront_offset 0
		.amdhsa_system_sgpr_workgroup_id_x 1
		.amdhsa_system_sgpr_workgroup_id_y 0
		.amdhsa_system_sgpr_workgroup_id_z 1
		.amdhsa_system_sgpr_workgroup_info 0
		.amdhsa_system_vgpr_workitem_id 1
		.amdhsa_next_free_vgpr 17
		.amdhsa_next_free_sgpr 20
		.amdhsa_reserve_vcc 1
		.amdhsa_reserve_flat_scratch 0
		.amdhsa_float_round_mode_32 0
		.amdhsa_float_round_mode_16_64 0
		.amdhsa_float_denorm_mode_32 3
		.amdhsa_float_denorm_mode_16_64 3
		.amdhsa_dx10_clamp 1
		.amdhsa_ieee_mode 1
		.amdhsa_fp16_overflow 0
		.amdhsa_exception_fp_ieee_invalid_op 0
		.amdhsa_exception_fp_denorm_src 0
		.amdhsa_exception_fp_ieee_div_zero 0
		.amdhsa_exception_fp_ieee_overflow 0
		.amdhsa_exception_fp_ieee_underflow 0
		.amdhsa_exception_fp_ieee_inexact 0
		.amdhsa_exception_int_div_zero 0
	.end_amdhsa_kernel
	.section	.text._ZL27rocblas_axpy_kernel_batchedIiLi128ELi8EdPKdPKS1_PKPdEviT3_lT4_lT_lT5_lS9_li,"axG",@progbits,_ZL27rocblas_axpy_kernel_batchedIiLi128ELi8EdPKdPKS1_PKPdEviT3_lT4_lT_lT5_lS9_li,comdat
.Lfunc_end68:
	.size	_ZL27rocblas_axpy_kernel_batchedIiLi128ELi8EdPKdPKS1_PKPdEviT3_lT4_lT_lT5_lS9_li, .Lfunc_end68-_ZL27rocblas_axpy_kernel_batchedIiLi128ELi8EdPKdPKS1_PKPdEviT3_lT4_lT_lT5_lS9_li
                                        ; -- End function
	.set _ZL27rocblas_axpy_kernel_batchedIiLi128ELi8EdPKdPKS1_PKPdEviT3_lT4_lT_lT5_lS9_li.num_vgpr, 17
	.set _ZL27rocblas_axpy_kernel_batchedIiLi128ELi8EdPKdPKS1_PKPdEviT3_lT4_lT_lT5_lS9_li.num_agpr, 0
	.set _ZL27rocblas_axpy_kernel_batchedIiLi128ELi8EdPKdPKS1_PKPdEviT3_lT4_lT_lT5_lS9_li.numbered_sgpr, 20
	.set _ZL27rocblas_axpy_kernel_batchedIiLi128ELi8EdPKdPKS1_PKPdEviT3_lT4_lT_lT5_lS9_li.num_named_barrier, 0
	.set _ZL27rocblas_axpy_kernel_batchedIiLi128ELi8EdPKdPKS1_PKPdEviT3_lT4_lT_lT5_lS9_li.private_seg_size, 0
	.set _ZL27rocblas_axpy_kernel_batchedIiLi128ELi8EdPKdPKS1_PKPdEviT3_lT4_lT_lT5_lS9_li.uses_vcc, 1
	.set _ZL27rocblas_axpy_kernel_batchedIiLi128ELi8EdPKdPKS1_PKPdEviT3_lT4_lT_lT5_lS9_li.uses_flat_scratch, 0
	.set _ZL27rocblas_axpy_kernel_batchedIiLi128ELi8EdPKdPKS1_PKPdEviT3_lT4_lT_lT5_lS9_li.has_dyn_sized_stack, 0
	.set _ZL27rocblas_axpy_kernel_batchedIiLi128ELi8EdPKdPKS1_PKPdEviT3_lT4_lT_lT5_lS9_li.has_recursion, 0
	.set _ZL27rocblas_axpy_kernel_batchedIiLi128ELi8EdPKdPKS1_PKPdEviT3_lT4_lT_lT5_lS9_li.has_indirect_call, 0
	.section	.AMDGPU.csdata,"",@progbits
; Kernel info:
; codeLenInByte = 1096
; TotalNumSgprs: 24
; NumVgprs: 17
; ScratchSize: 0
; MemoryBound: 0
; FloatMode: 240
; IeeeMode: 1
; LDSByteSize: 0 bytes/workgroup (compile time only)
; SGPRBlocks: 2
; VGPRBlocks: 4
; NumSGPRsForWavesPerEU: 24
; NumVGPRsForWavesPerEU: 17
; Occupancy: 10
; WaveLimiterHint : 1
; COMPUTE_PGM_RSRC2:SCRATCH_EN: 0
; COMPUTE_PGM_RSRC2:USER_SGPR: 6
; COMPUTE_PGM_RSRC2:TRAP_HANDLER: 0
; COMPUTE_PGM_RSRC2:TGID_X_EN: 1
; COMPUTE_PGM_RSRC2:TGID_Y_EN: 0
; COMPUTE_PGM_RSRC2:TGID_Z_EN: 1
; COMPUTE_PGM_RSRC2:TIDIG_COMP_CNT: 1
	.section	.text._ZL27rocblas_axpy_kernel_batchedIiLi128ELi8EddPKPKdPKPdEviT3_lT4_lT_lT5_lS9_li,"axG",@progbits,_ZL27rocblas_axpy_kernel_batchedIiLi128ELi8EddPKPKdPKPdEviT3_lT4_lT_lT5_lS9_li,comdat
	.globl	_ZL27rocblas_axpy_kernel_batchedIiLi128ELi8EddPKPKdPKPdEviT3_lT4_lT_lT5_lS9_li ; -- Begin function _ZL27rocblas_axpy_kernel_batchedIiLi128ELi8EddPKPKdPKPdEviT3_lT4_lT_lT5_lS9_li
	.p2align	8
	.type	_ZL27rocblas_axpy_kernel_batchedIiLi128ELi8EddPKPKdPKPdEviT3_lT4_lT_lT5_lS9_li,@function
_ZL27rocblas_axpy_kernel_batchedIiLi128ELi8EddPKPKdPKPdEviT3_lT4_lT_lT5_lS9_li: ; @_ZL27rocblas_axpy_kernel_batchedIiLi128ELi8EddPKPKdPKPdEviT3_lT4_lT_lT5_lS9_li
; %bb.0:
	s_load_dword s0, s[4:5], 0x0
	v_lshl_add_u32 v2, s6, 7, v0
	v_mov_b32_e32 v3, 0
	s_waitcnt lgkmcnt(0)
	s_ashr_i32 s1, s0, 31
	v_cmp_gt_i64_e32 vcc, s[0:1], v[2:3]
	s_and_saveexec_b64 s[0:1], vcc
	s_cbranch_execz .LBB69_9
; %bb.1:
	s_load_dword s6, s[4:5], 0x28
	s_load_dwordx2 s[12:13], s[4:5], 0x8
	s_load_dwordx4 s[0:3], s[4:5], 0x18
	s_load_dwordx4 s[8:11], s[4:5], 0x38
	s_load_dword s15, s[4:5], 0x48
	s_load_dword s14, s[4:5], 0x58
	s_waitcnt lgkmcnt(0)
	v_mad_u64_u32 v[5:6], s[4:5], s6, v2, 0
	s_ashr_i32 s16, s6, 31
	v_mad_u64_u32 v[7:8], s[4:5], s15, v2, 0
	v_mov_b32_e32 v0, v6
	s_ashr_i32 s6, s15, 31
	v_mad_u64_u32 v[3:4], s[4:5], s16, v2, v[0:1]
	v_mov_b32_e32 v0, v8
	v_mad_u64_u32 v[8:9], s[4:5], s6, v2, v[0:1]
	v_cmp_neq_f64_e64 s[4:5], s[12:13], 0
	v_lshlrev_b32_e32 v0, 2, v1
	v_lshl_add_u32 v4, s7, 5, v0
	v_mov_b32_e32 v6, v3
	v_cmp_gt_u32_e32 vcc, s14, v4
	v_lshlrev_b64 v[2:3], 3, v[5:6]
	v_lshlrev_b64 v[0:1], 3, v[7:8]
	s_and_b64 s[16:17], s[4:5], vcc
	s_and_saveexec_b64 s[6:7], s[16:17]
	s_cbranch_execz .LBB69_3
; %bb.2:
	v_mov_b32_e32 v5, 0
	v_lshlrev_b64 v[5:6], 3, v[4:5]
	v_mov_b32_e32 v8, s1
	v_add_co_u32_e32 v7, vcc, s0, v5
	v_addc_co_u32_e32 v8, vcc, v8, v6, vcc
	global_load_dwordx2 v[7:8], v[7:8], off
	v_mov_b32_e32 v9, s9
	v_add_co_u32_e32 v5, vcc, s8, v5
	v_addc_co_u32_e32 v6, vcc, v9, v6, vcc
	global_load_dwordx2 v[5:6], v[5:6], off
	s_lshl_b64 s[16:17], s[2:3], 3
	v_mov_b32_e32 v9, s17
	s_lshl_b64 s[18:19], s[10:11], 3
	v_mov_b32_e32 v10, s19
	s_waitcnt vmcnt(1)
	v_add_co_u32_e32 v7, vcc, s16, v7
	v_addc_co_u32_e32 v8, vcc, v8, v9, vcc
	s_waitcnt vmcnt(0)
	v_add_co_u32_e32 v9, vcc, s18, v5
	v_addc_co_u32_e32 v10, vcc, v6, v10, vcc
	v_add_co_u32_e32 v5, vcc, v7, v2
	v_addc_co_u32_e32 v6, vcc, v8, v3, vcc
	;; [unrolled: 2-line block ×3, first 2 shown]
	flat_load_dwordx2 v[9:10], v[7:8]
	flat_load_dwordx2 v[11:12], v[5:6]
	s_waitcnt vmcnt(0) lgkmcnt(0)
	v_fma_f64 v[5:6], s[12:13], v[11:12], v[9:10]
	flat_store_dwordx2 v[7:8], v[5:6]
.LBB69_3:
	s_or_b64 exec, exec, s[6:7]
	v_or_b32_e32 v5, 1, v4
	v_cmp_gt_u32_e32 vcc, s14, v5
	s_and_b64 s[16:17], s[4:5], vcc
	s_and_saveexec_b64 s[6:7], s[16:17]
	s_cbranch_execz .LBB69_5
; %bb.4:
	v_mov_b32_e32 v5, 0
	v_lshlrev_b64 v[5:6], 3, v[4:5]
	v_mov_b32_e32 v8, s1
	v_add_co_u32_e32 v7, vcc, s0, v5
	v_addc_co_u32_e32 v8, vcc, v8, v6, vcc
	global_load_dwordx2 v[7:8], v[7:8], off offset:8
	v_mov_b32_e32 v9, s9
	v_add_co_u32_e32 v5, vcc, s8, v5
	v_addc_co_u32_e32 v6, vcc, v9, v6, vcc
	global_load_dwordx2 v[5:6], v[5:6], off offset:8
	s_lshl_b64 s[16:17], s[2:3], 3
	v_mov_b32_e32 v9, s17
	s_lshl_b64 s[18:19], s[10:11], 3
	v_mov_b32_e32 v10, s19
	s_waitcnt vmcnt(0)
	v_add_co_u32_e32 v7, vcc, s16, v7
	v_addc_co_u32_e32 v8, vcc, v8, v9, vcc
	v_add_co_u32_e32 v9, vcc, s18, v5
	v_addc_co_u32_e32 v10, vcc, v6, v10, vcc
	;; [unrolled: 2-line block ×4, first 2 shown]
	flat_load_dwordx2 v[9:10], v[7:8]
	flat_load_dwordx2 v[11:12], v[5:6]
	s_waitcnt vmcnt(0) lgkmcnt(0)
	v_fma_f64 v[5:6], s[12:13], v[11:12], v[9:10]
	flat_store_dwordx2 v[7:8], v[5:6]
.LBB69_5:
	s_or_b64 exec, exec, s[6:7]
	v_or_b32_e32 v5, 2, v4
	v_cmp_gt_u32_e32 vcc, s14, v5
	s_and_b64 s[16:17], s[4:5], vcc
	s_and_saveexec_b64 s[6:7], s[16:17]
	s_cbranch_execz .LBB69_7
; %bb.6:
	v_mov_b32_e32 v5, 0
	v_lshlrev_b64 v[5:6], 3, v[4:5]
	v_mov_b32_e32 v8, s1
	v_add_co_u32_e32 v7, vcc, s0, v5
	v_addc_co_u32_e32 v8, vcc, v8, v6, vcc
	global_load_dwordx2 v[7:8], v[7:8], off offset:16
	v_mov_b32_e32 v9, s9
	v_add_co_u32_e32 v5, vcc, s8, v5
	v_addc_co_u32_e32 v6, vcc, v9, v6, vcc
	global_load_dwordx2 v[5:6], v[5:6], off offset:16
	s_lshl_b64 s[16:17], s[2:3], 3
	v_mov_b32_e32 v9, s17
	s_lshl_b64 s[18:19], s[10:11], 3
	v_mov_b32_e32 v10, s19
	s_waitcnt vmcnt(0)
	v_add_co_u32_e32 v7, vcc, s16, v7
	v_addc_co_u32_e32 v8, vcc, v8, v9, vcc
	v_add_co_u32_e32 v9, vcc, s18, v5
	v_addc_co_u32_e32 v10, vcc, v6, v10, vcc
	;; [unrolled: 2-line block ×4, first 2 shown]
	flat_load_dwordx2 v[9:10], v[7:8]
	flat_load_dwordx2 v[11:12], v[5:6]
	s_waitcnt vmcnt(0) lgkmcnt(0)
	v_fma_f64 v[5:6], s[12:13], v[11:12], v[9:10]
	flat_store_dwordx2 v[7:8], v[5:6]
.LBB69_7:
	s_or_b64 exec, exec, s[6:7]
	v_or_b32_e32 v5, 3, v4
	v_cmp_gt_u32_e32 vcc, s14, v5
	s_and_b64 s[4:5], s[4:5], vcc
	s_and_b64 exec, exec, s[4:5]
	s_cbranch_execz .LBB69_9
; %bb.8:
	v_mov_b32_e32 v5, 0
	v_lshlrev_b64 v[4:5], 3, v[4:5]
	v_mov_b32_e32 v7, s1
	v_add_co_u32_e32 v6, vcc, s0, v4
	v_addc_co_u32_e32 v7, vcc, v7, v5, vcc
	global_load_dwordx2 v[6:7], v[6:7], off offset:24
	v_mov_b32_e32 v8, s9
	v_add_co_u32_e32 v4, vcc, s8, v4
	v_addc_co_u32_e32 v5, vcc, v8, v5, vcc
	global_load_dwordx2 v[4:5], v[4:5], off offset:24
	s_lshl_b64 s[0:1], s[2:3], 3
	v_mov_b32_e32 v8, s1
	s_lshl_b64 s[2:3], s[10:11], 3
	v_mov_b32_e32 v9, s3
	s_waitcnt vmcnt(0)
	v_add_co_u32_e32 v6, vcc, s0, v6
	v_addc_co_u32_e32 v7, vcc, v7, v8, vcc
	v_add_co_u32_e32 v4, vcc, s2, v4
	v_addc_co_u32_e32 v5, vcc, v5, v9, vcc
	;; [unrolled: 2-line block ×4, first 2 shown]
	flat_load_dwordx2 v[4:5], v[0:1]
	flat_load_dwordx2 v[6:7], v[2:3]
	s_waitcnt vmcnt(0) lgkmcnt(0)
	v_fma_f64 v[2:3], s[12:13], v[6:7], v[4:5]
	flat_store_dwordx2 v[0:1], v[2:3]
.LBB69_9:
	s_endpgm
	.section	.rodata,"a",@progbits
	.p2align	6, 0x0
	.amdhsa_kernel _ZL27rocblas_axpy_kernel_batchedIiLi128ELi8EddPKPKdPKPdEviT3_lT4_lT_lT5_lS9_li
		.amdhsa_group_segment_fixed_size 0
		.amdhsa_private_segment_fixed_size 0
		.amdhsa_kernarg_size 92
		.amdhsa_user_sgpr_count 6
		.amdhsa_user_sgpr_private_segment_buffer 1
		.amdhsa_user_sgpr_dispatch_ptr 0
		.amdhsa_user_sgpr_queue_ptr 0
		.amdhsa_user_sgpr_kernarg_segment_ptr 1
		.amdhsa_user_sgpr_dispatch_id 0
		.amdhsa_user_sgpr_flat_scratch_init 0
		.amdhsa_user_sgpr_private_segment_size 0
		.amdhsa_uses_dynamic_stack 0
		.amdhsa_system_sgpr_private_segment_wavefront_offset 0
		.amdhsa_system_sgpr_workgroup_id_x 1
		.amdhsa_system_sgpr_workgroup_id_y 0
		.amdhsa_system_sgpr_workgroup_id_z 1
		.amdhsa_system_sgpr_workgroup_info 0
		.amdhsa_system_vgpr_workitem_id 1
		.amdhsa_next_free_vgpr 13
		.amdhsa_next_free_sgpr 20
		.amdhsa_reserve_vcc 1
		.amdhsa_reserve_flat_scratch 0
		.amdhsa_float_round_mode_32 0
		.amdhsa_float_round_mode_16_64 0
		.amdhsa_float_denorm_mode_32 3
		.amdhsa_float_denorm_mode_16_64 3
		.amdhsa_dx10_clamp 1
		.amdhsa_ieee_mode 1
		.amdhsa_fp16_overflow 0
		.amdhsa_exception_fp_ieee_invalid_op 0
		.amdhsa_exception_fp_denorm_src 0
		.amdhsa_exception_fp_ieee_div_zero 0
		.amdhsa_exception_fp_ieee_overflow 0
		.amdhsa_exception_fp_ieee_underflow 0
		.amdhsa_exception_fp_ieee_inexact 0
		.amdhsa_exception_int_div_zero 0
	.end_amdhsa_kernel
	.section	.text._ZL27rocblas_axpy_kernel_batchedIiLi128ELi8EddPKPKdPKPdEviT3_lT4_lT_lT5_lS9_li,"axG",@progbits,_ZL27rocblas_axpy_kernel_batchedIiLi128ELi8EddPKPKdPKPdEviT3_lT4_lT_lT5_lS9_li,comdat
.Lfunc_end69:
	.size	_ZL27rocblas_axpy_kernel_batchedIiLi128ELi8EddPKPKdPKPdEviT3_lT4_lT_lT5_lS9_li, .Lfunc_end69-_ZL27rocblas_axpy_kernel_batchedIiLi128ELi8EddPKPKdPKPdEviT3_lT4_lT_lT5_lS9_li
                                        ; -- End function
	.set _ZL27rocblas_axpy_kernel_batchedIiLi128ELi8EddPKPKdPKPdEviT3_lT4_lT_lT5_lS9_li.num_vgpr, 13
	.set _ZL27rocblas_axpy_kernel_batchedIiLi128ELi8EddPKPKdPKPdEviT3_lT4_lT_lT5_lS9_li.num_agpr, 0
	.set _ZL27rocblas_axpy_kernel_batchedIiLi128ELi8EddPKPKdPKPdEviT3_lT4_lT_lT5_lS9_li.numbered_sgpr, 20
	.set _ZL27rocblas_axpy_kernel_batchedIiLi128ELi8EddPKPKdPKPdEviT3_lT4_lT_lT5_lS9_li.num_named_barrier, 0
	.set _ZL27rocblas_axpy_kernel_batchedIiLi128ELi8EddPKPKdPKPdEviT3_lT4_lT_lT5_lS9_li.private_seg_size, 0
	.set _ZL27rocblas_axpy_kernel_batchedIiLi128ELi8EddPKPKdPKPdEviT3_lT4_lT_lT5_lS9_li.uses_vcc, 1
	.set _ZL27rocblas_axpy_kernel_batchedIiLi128ELi8EddPKPKdPKPdEviT3_lT4_lT_lT5_lS9_li.uses_flat_scratch, 0
	.set _ZL27rocblas_axpy_kernel_batchedIiLi128ELi8EddPKPKdPKPdEviT3_lT4_lT_lT5_lS9_li.has_dyn_sized_stack, 0
	.set _ZL27rocblas_axpy_kernel_batchedIiLi128ELi8EddPKPKdPKPdEviT3_lT4_lT_lT5_lS9_li.has_recursion, 0
	.set _ZL27rocblas_axpy_kernel_batchedIiLi128ELi8EddPKPKdPKPdEviT3_lT4_lT_lT5_lS9_li.has_indirect_call, 0
	.section	.AMDGPU.csdata,"",@progbits
; Kernel info:
; codeLenInByte = 836
; TotalNumSgprs: 24
; NumVgprs: 13
; ScratchSize: 0
; MemoryBound: 0
; FloatMode: 240
; IeeeMode: 1
; LDSByteSize: 0 bytes/workgroup (compile time only)
; SGPRBlocks: 2
; VGPRBlocks: 3
; NumSGPRsForWavesPerEU: 24
; NumVGPRsForWavesPerEU: 13
; Occupancy: 10
; WaveLimiterHint : 1
; COMPUTE_PGM_RSRC2:SCRATCH_EN: 0
; COMPUTE_PGM_RSRC2:USER_SGPR: 6
; COMPUTE_PGM_RSRC2:TRAP_HANDLER: 0
; COMPUTE_PGM_RSRC2:TGID_X_EN: 1
; COMPUTE_PGM_RSRC2:TGID_Y_EN: 0
; COMPUTE_PGM_RSRC2:TGID_Z_EN: 1
; COMPUTE_PGM_RSRC2:TIDIG_COMP_CNT: 1
	.section	.text._ZL19rocblas_axpy_kernelIiLi256EdPKdPKS1_PKPdEviT2_lT3_lT_lT4_lS9_li,"axG",@progbits,_ZL19rocblas_axpy_kernelIiLi256EdPKdPKS1_PKPdEviT2_lT3_lT_lT4_lS9_li,comdat
	.globl	_ZL19rocblas_axpy_kernelIiLi256EdPKdPKS1_PKPdEviT2_lT3_lT_lT4_lS9_li ; -- Begin function _ZL19rocblas_axpy_kernelIiLi256EdPKdPKS1_PKPdEviT2_lT3_lT_lT4_lS9_li
	.p2align	8
	.type	_ZL19rocblas_axpy_kernelIiLi256EdPKdPKS1_PKPdEviT2_lT3_lT_lT4_lS9_li,@function
_ZL19rocblas_axpy_kernelIiLi256EdPKdPKS1_PKPdEviT2_lT3_lT_lT4_lS9_li: ; @_ZL19rocblas_axpy_kernelIiLi256EdPKdPKS1_PKPdEviT2_lT3_lT_lT4_lS9_li
; %bb.0:
	s_load_dword s12, s[4:5], 0x0
	s_load_dwordx4 s[8:11], s[4:5], 0x8
	v_lshl_or_b32 v0, s6, 8, v0
	v_mov_b32_e32 v1, 0
	s_mov_b32 s2, s7
	s_waitcnt lgkmcnt(0)
	s_ashr_i32 s13, s12, 31
	s_mul_i32 s0, s11, s7
	s_mul_hi_u32 s1, s10, s7
	s_add_i32 s1, s1, s0
	s_mul_i32 s0, s10, s7
	s_lshl_b64 s[0:1], s[0:1], 3
	s_add_u32 s0, s8, s0
	s_addc_u32 s1, s9, s1
	s_load_dwordx2 s[0:1], s[0:1], 0x0
	v_cmp_gt_i64_e32 vcc, s[12:13], v[0:1]
	s_waitcnt lgkmcnt(0)
	v_cmp_neq_f64_e64 s[8:9], s[0:1], 0
	s_and_b64 s[6:7], vcc, s[8:9]
	s_and_saveexec_b64 s[8:9], s[6:7]
	s_cbranch_execz .LBB70_2
; %bb.1:
	s_load_dword s12, s[4:5], 0x28
	s_load_dwordx4 s[8:11], s[4:5], 0x18
	s_load_dword s16, s[4:5], 0x48
	s_mov_b32 s3, 0
	s_lshl_b64 s[2:3], s[2:3], 3
	s_waitcnt lgkmcnt(0)
	v_mad_u64_u32 v[1:2], s[6:7], s12, v0, 0
	s_ashr_i32 s6, s12, 31
	s_ashr_i32 s17, s16, 31
	v_mad_u64_u32 v[2:3], s[6:7], s6, v0, v[2:3]
	s_add_u32 s6, s8, s2
	s_addc_u32 s7, s9, s3
	s_load_dwordx2 s[8:9], s[6:7], 0x0
	s_load_dwordx4 s[12:15], s[4:5], 0x38
	s_lshl_b64 s[4:5], s[10:11], 3
	v_mad_u64_u32 v[3:4], s[6:7], s16, v0, 0
	s_waitcnt lgkmcnt(0)
	s_add_u32 s8, s8, s4
	s_addc_u32 s4, s9, s5
	s_add_u32 s2, s12, s2
	s_addc_u32 s3, s13, s3
	s_load_dwordx2 s[2:3], s[2:3], 0x0
	v_mov_b32_e32 v6, s4
	v_mad_u64_u32 v[4:5], s[4:5], s17, v0, v[4:5]
	v_lshlrev_b64 v[1:2], 3, v[1:2]
	s_lshl_b64 s[4:5], s[14:15], 3
	v_add_co_u32_e32 v0, vcc, s8, v1
	v_addc_co_u32_e32 v1, vcc, v6, v2, vcc
	s_waitcnt lgkmcnt(0)
	s_add_u32 s2, s2, s4
	v_lshlrev_b64 v[2:3], 3, v[3:4]
	s_addc_u32 s3, s3, s5
	v_mov_b32_e32 v4, s3
	v_add_co_u32_e32 v2, vcc, s2, v2
	v_addc_co_u32_e32 v3, vcc, v4, v3, vcc
	flat_load_dwordx2 v[4:5], v[2:3]
	flat_load_dwordx2 v[6:7], v[0:1]
	s_waitcnt vmcnt(0) lgkmcnt(0)
	v_fma_f64 v[0:1], s[0:1], v[6:7], v[4:5]
	flat_store_dwordx2 v[2:3], v[0:1]
.LBB70_2:
	s_endpgm
	.section	.rodata,"a",@progbits
	.p2align	6, 0x0
	.amdhsa_kernel _ZL19rocblas_axpy_kernelIiLi256EdPKdPKS1_PKPdEviT2_lT3_lT_lT4_lS9_li
		.amdhsa_group_segment_fixed_size 0
		.amdhsa_private_segment_fixed_size 0
		.amdhsa_kernarg_size 92
		.amdhsa_user_sgpr_count 6
		.amdhsa_user_sgpr_private_segment_buffer 1
		.amdhsa_user_sgpr_dispatch_ptr 0
		.amdhsa_user_sgpr_queue_ptr 0
		.amdhsa_user_sgpr_kernarg_segment_ptr 1
		.amdhsa_user_sgpr_dispatch_id 0
		.amdhsa_user_sgpr_flat_scratch_init 0
		.amdhsa_user_sgpr_private_segment_size 0
		.amdhsa_uses_dynamic_stack 0
		.amdhsa_system_sgpr_private_segment_wavefront_offset 0
		.amdhsa_system_sgpr_workgroup_id_x 1
		.amdhsa_system_sgpr_workgroup_id_y 0
		.amdhsa_system_sgpr_workgroup_id_z 1
		.amdhsa_system_sgpr_workgroup_info 0
		.amdhsa_system_vgpr_workitem_id 0
		.amdhsa_next_free_vgpr 8
		.amdhsa_next_free_sgpr 18
		.amdhsa_reserve_vcc 1
		.amdhsa_reserve_flat_scratch 0
		.amdhsa_float_round_mode_32 0
		.amdhsa_float_round_mode_16_64 0
		.amdhsa_float_denorm_mode_32 3
		.amdhsa_float_denorm_mode_16_64 3
		.amdhsa_dx10_clamp 1
		.amdhsa_ieee_mode 1
		.amdhsa_fp16_overflow 0
		.amdhsa_exception_fp_ieee_invalid_op 0
		.amdhsa_exception_fp_denorm_src 0
		.amdhsa_exception_fp_ieee_div_zero 0
		.amdhsa_exception_fp_ieee_overflow 0
		.amdhsa_exception_fp_ieee_underflow 0
		.amdhsa_exception_fp_ieee_inexact 0
		.amdhsa_exception_int_div_zero 0
	.end_amdhsa_kernel
	.section	.text._ZL19rocblas_axpy_kernelIiLi256EdPKdPKS1_PKPdEviT2_lT3_lT_lT4_lS9_li,"axG",@progbits,_ZL19rocblas_axpy_kernelIiLi256EdPKdPKS1_PKPdEviT2_lT3_lT_lT4_lS9_li,comdat
.Lfunc_end70:
	.size	_ZL19rocblas_axpy_kernelIiLi256EdPKdPKS1_PKPdEviT2_lT3_lT_lT4_lS9_li, .Lfunc_end70-_ZL19rocblas_axpy_kernelIiLi256EdPKdPKS1_PKPdEviT2_lT3_lT_lT4_lS9_li
                                        ; -- End function
	.set _ZL19rocblas_axpy_kernelIiLi256EdPKdPKS1_PKPdEviT2_lT3_lT_lT4_lS9_li.num_vgpr, 8
	.set _ZL19rocblas_axpy_kernelIiLi256EdPKdPKS1_PKPdEviT2_lT3_lT_lT4_lS9_li.num_agpr, 0
	.set _ZL19rocblas_axpy_kernelIiLi256EdPKdPKS1_PKPdEviT2_lT3_lT_lT4_lS9_li.numbered_sgpr, 18
	.set _ZL19rocblas_axpy_kernelIiLi256EdPKdPKS1_PKPdEviT2_lT3_lT_lT4_lS9_li.num_named_barrier, 0
	.set _ZL19rocblas_axpy_kernelIiLi256EdPKdPKS1_PKPdEviT2_lT3_lT_lT4_lS9_li.private_seg_size, 0
	.set _ZL19rocblas_axpy_kernelIiLi256EdPKdPKS1_PKPdEviT2_lT3_lT_lT4_lS9_li.uses_vcc, 1
	.set _ZL19rocblas_axpy_kernelIiLi256EdPKdPKS1_PKPdEviT2_lT3_lT_lT4_lS9_li.uses_flat_scratch, 0
	.set _ZL19rocblas_axpy_kernelIiLi256EdPKdPKS1_PKPdEviT2_lT3_lT_lT4_lS9_li.has_dyn_sized_stack, 0
	.set _ZL19rocblas_axpy_kernelIiLi256EdPKdPKS1_PKPdEviT2_lT3_lT_lT4_lS9_li.has_recursion, 0
	.set _ZL19rocblas_axpy_kernelIiLi256EdPKdPKS1_PKPdEviT2_lT3_lT_lT4_lS9_li.has_indirect_call, 0
	.section	.AMDGPU.csdata,"",@progbits
; Kernel info:
; codeLenInByte = 332
; TotalNumSgprs: 22
; NumVgprs: 8
; ScratchSize: 0
; MemoryBound: 0
; FloatMode: 240
; IeeeMode: 1
; LDSByteSize: 0 bytes/workgroup (compile time only)
; SGPRBlocks: 2
; VGPRBlocks: 1
; NumSGPRsForWavesPerEU: 22
; NumVGPRsForWavesPerEU: 8
; Occupancy: 10
; WaveLimiterHint : 1
; COMPUTE_PGM_RSRC2:SCRATCH_EN: 0
; COMPUTE_PGM_RSRC2:USER_SGPR: 6
; COMPUTE_PGM_RSRC2:TRAP_HANDLER: 0
; COMPUTE_PGM_RSRC2:TGID_X_EN: 1
; COMPUTE_PGM_RSRC2:TGID_Y_EN: 0
; COMPUTE_PGM_RSRC2:TGID_Z_EN: 1
; COMPUTE_PGM_RSRC2:TIDIG_COMP_CNT: 0
	.section	.text._ZL19rocblas_axpy_kernelIiLi256EddPKPKdPKPdEviT2_lT3_lT_lT4_lS9_li,"axG",@progbits,_ZL19rocblas_axpy_kernelIiLi256EddPKPKdPKPdEviT2_lT3_lT_lT4_lS9_li,comdat
	.globl	_ZL19rocblas_axpy_kernelIiLi256EddPKPKdPKPdEviT2_lT3_lT_lT4_lS9_li ; -- Begin function _ZL19rocblas_axpy_kernelIiLi256EddPKPKdPKPdEviT2_lT3_lT_lT4_lS9_li
	.p2align	8
	.type	_ZL19rocblas_axpy_kernelIiLi256EddPKPKdPKPdEviT2_lT3_lT_lT4_lS9_li,@function
_ZL19rocblas_axpy_kernelIiLi256EddPKPKdPKPdEviT2_lT3_lT_lT4_lS9_li: ; @_ZL19rocblas_axpy_kernelIiLi256EddPKPKdPKPdEviT2_lT3_lT_lT4_lS9_li
; %bb.0:
	s_load_dwordx2 s[0:1], s[4:5], 0x8
	s_load_dword s8, s[4:5], 0x0
	v_lshl_or_b32 v0, s6, 8, v0
	v_mov_b32_e32 v1, 0
	s_mov_b32 s2, s7
	s_waitcnt lgkmcnt(0)
	v_cmp_neq_f64_e64 s[10:11], s[0:1], 0
	s_ashr_i32 s9, s8, 31
	v_cmp_gt_i64_e32 vcc, s[8:9], v[0:1]
	s_and_b64 s[6:7], s[10:11], vcc
	s_and_saveexec_b64 s[8:9], s[6:7]
	s_cbranch_execz .LBB71_2
; %bb.1:
	s_load_dword s12, s[4:5], 0x28
	s_load_dwordx4 s[8:11], s[4:5], 0x18
	s_load_dword s16, s[4:5], 0x48
	s_mov_b32 s3, 0
	s_lshl_b64 s[2:3], s[2:3], 3
	s_waitcnt lgkmcnt(0)
	v_mad_u64_u32 v[1:2], s[6:7], s12, v0, 0
	s_ashr_i32 s6, s12, 31
	s_ashr_i32 s17, s16, 31
	v_mad_u64_u32 v[2:3], s[6:7], s6, v0, v[2:3]
	s_add_u32 s6, s8, s2
	s_addc_u32 s7, s9, s3
	s_load_dwordx2 s[8:9], s[6:7], 0x0
	s_load_dwordx4 s[12:15], s[4:5], 0x38
	s_lshl_b64 s[4:5], s[10:11], 3
	v_mad_u64_u32 v[3:4], s[6:7], s16, v0, 0
	s_waitcnt lgkmcnt(0)
	s_add_u32 s8, s8, s4
	s_addc_u32 s4, s9, s5
	s_add_u32 s2, s12, s2
	s_addc_u32 s3, s13, s3
	s_load_dwordx2 s[2:3], s[2:3], 0x0
	v_mov_b32_e32 v6, s4
	v_mad_u64_u32 v[4:5], s[4:5], s17, v0, v[4:5]
	v_lshlrev_b64 v[1:2], 3, v[1:2]
	s_lshl_b64 s[4:5], s[14:15], 3
	v_add_co_u32_e32 v0, vcc, s8, v1
	v_addc_co_u32_e32 v1, vcc, v6, v2, vcc
	s_waitcnt lgkmcnt(0)
	s_add_u32 s2, s2, s4
	v_lshlrev_b64 v[2:3], 3, v[3:4]
	s_addc_u32 s3, s3, s5
	v_mov_b32_e32 v4, s3
	v_add_co_u32_e32 v2, vcc, s2, v2
	v_addc_co_u32_e32 v3, vcc, v4, v3, vcc
	flat_load_dwordx2 v[4:5], v[2:3]
	flat_load_dwordx2 v[6:7], v[0:1]
	s_waitcnt vmcnt(0) lgkmcnt(0)
	v_fma_f64 v[0:1], s[0:1], v[6:7], v[4:5]
	flat_store_dwordx2 v[2:3], v[0:1]
.LBB71_2:
	s_endpgm
	.section	.rodata,"a",@progbits
	.p2align	6, 0x0
	.amdhsa_kernel _ZL19rocblas_axpy_kernelIiLi256EddPKPKdPKPdEviT2_lT3_lT_lT4_lS9_li
		.amdhsa_group_segment_fixed_size 0
		.amdhsa_private_segment_fixed_size 0
		.amdhsa_kernarg_size 92
		.amdhsa_user_sgpr_count 6
		.amdhsa_user_sgpr_private_segment_buffer 1
		.amdhsa_user_sgpr_dispatch_ptr 0
		.amdhsa_user_sgpr_queue_ptr 0
		.amdhsa_user_sgpr_kernarg_segment_ptr 1
		.amdhsa_user_sgpr_dispatch_id 0
		.amdhsa_user_sgpr_flat_scratch_init 0
		.amdhsa_user_sgpr_private_segment_size 0
		.amdhsa_uses_dynamic_stack 0
		.amdhsa_system_sgpr_private_segment_wavefront_offset 0
		.amdhsa_system_sgpr_workgroup_id_x 1
		.amdhsa_system_sgpr_workgroup_id_y 0
		.amdhsa_system_sgpr_workgroup_id_z 1
		.amdhsa_system_sgpr_workgroup_info 0
		.amdhsa_system_vgpr_workitem_id 0
		.amdhsa_next_free_vgpr 8
		.amdhsa_next_free_sgpr 18
		.amdhsa_reserve_vcc 1
		.amdhsa_reserve_flat_scratch 0
		.amdhsa_float_round_mode_32 0
		.amdhsa_float_round_mode_16_64 0
		.amdhsa_float_denorm_mode_32 3
		.amdhsa_float_denorm_mode_16_64 3
		.amdhsa_dx10_clamp 1
		.amdhsa_ieee_mode 1
		.amdhsa_fp16_overflow 0
		.amdhsa_exception_fp_ieee_invalid_op 0
		.amdhsa_exception_fp_denorm_src 0
		.amdhsa_exception_fp_ieee_div_zero 0
		.amdhsa_exception_fp_ieee_overflow 0
		.amdhsa_exception_fp_ieee_underflow 0
		.amdhsa_exception_fp_ieee_inexact 0
		.amdhsa_exception_int_div_zero 0
	.end_amdhsa_kernel
	.section	.text._ZL19rocblas_axpy_kernelIiLi256EddPKPKdPKPdEviT2_lT3_lT_lT4_lS9_li,"axG",@progbits,_ZL19rocblas_axpy_kernelIiLi256EddPKPKdPKPdEviT2_lT3_lT_lT4_lS9_li,comdat
.Lfunc_end71:
	.size	_ZL19rocblas_axpy_kernelIiLi256EddPKPKdPKPdEviT2_lT3_lT_lT4_lS9_li, .Lfunc_end71-_ZL19rocblas_axpy_kernelIiLi256EddPKPKdPKPdEviT2_lT3_lT_lT4_lS9_li
                                        ; -- End function
	.set _ZL19rocblas_axpy_kernelIiLi256EddPKPKdPKPdEviT2_lT3_lT_lT4_lS9_li.num_vgpr, 8
	.set _ZL19rocblas_axpy_kernelIiLi256EddPKPKdPKPdEviT2_lT3_lT_lT4_lS9_li.num_agpr, 0
	.set _ZL19rocblas_axpy_kernelIiLi256EddPKPKdPKPdEviT2_lT3_lT_lT4_lS9_li.numbered_sgpr, 18
	.set _ZL19rocblas_axpy_kernelIiLi256EddPKPKdPKPdEviT2_lT3_lT_lT4_lS9_li.num_named_barrier, 0
	.set _ZL19rocblas_axpy_kernelIiLi256EddPKPKdPKPdEviT2_lT3_lT_lT4_lS9_li.private_seg_size, 0
	.set _ZL19rocblas_axpy_kernelIiLi256EddPKPKdPKPdEviT2_lT3_lT_lT4_lS9_li.uses_vcc, 1
	.set _ZL19rocblas_axpy_kernelIiLi256EddPKPKdPKPdEviT2_lT3_lT_lT4_lS9_li.uses_flat_scratch, 0
	.set _ZL19rocblas_axpy_kernelIiLi256EddPKPKdPKPdEviT2_lT3_lT_lT4_lS9_li.has_dyn_sized_stack, 0
	.set _ZL19rocblas_axpy_kernelIiLi256EddPKPKdPKPdEviT2_lT3_lT_lT4_lS9_li.has_recursion, 0
	.set _ZL19rocblas_axpy_kernelIiLi256EddPKPKdPKPdEviT2_lT3_lT_lT4_lS9_li.has_indirect_call, 0
	.section	.AMDGPU.csdata,"",@progbits
; Kernel info:
; codeLenInByte = 292
; TotalNumSgprs: 22
; NumVgprs: 8
; ScratchSize: 0
; MemoryBound: 0
; FloatMode: 240
; IeeeMode: 1
; LDSByteSize: 0 bytes/workgroup (compile time only)
; SGPRBlocks: 2
; VGPRBlocks: 1
; NumSGPRsForWavesPerEU: 22
; NumVGPRsForWavesPerEU: 8
; Occupancy: 10
; WaveLimiterHint : 1
; COMPUTE_PGM_RSRC2:SCRATCH_EN: 0
; COMPUTE_PGM_RSRC2:USER_SGPR: 6
; COMPUTE_PGM_RSRC2:TRAP_HANDLER: 0
; COMPUTE_PGM_RSRC2:TGID_X_EN: 1
; COMPUTE_PGM_RSRC2:TGID_Y_EN: 0
; COMPUTE_PGM_RSRC2:TGID_Z_EN: 1
; COMPUTE_PGM_RSRC2:TIDIG_COMP_CNT: 0
	.section	.text._ZL26rocblas_haxpy_mlt_8_kernelILi256EPKDF16_PKPK19rocblas_complex_numIfEPKPS3_EviT0_lT1_llT2_lli,"axG",@progbits,_ZL26rocblas_haxpy_mlt_8_kernelILi256EPKDF16_PKPK19rocblas_complex_numIfEPKPS3_EviT0_lT1_llT2_lli,comdat
	.globl	_ZL26rocblas_haxpy_mlt_8_kernelILi256EPKDF16_PKPK19rocblas_complex_numIfEPKPS3_EviT0_lT1_llT2_lli ; -- Begin function _ZL26rocblas_haxpy_mlt_8_kernelILi256EPKDF16_PKPK19rocblas_complex_numIfEPKPS3_EviT0_lT1_llT2_lli
	.p2align	8
	.type	_ZL26rocblas_haxpy_mlt_8_kernelILi256EPKDF16_PKPK19rocblas_complex_numIfEPKPS3_EviT0_lT1_llT2_lli,@function
_ZL26rocblas_haxpy_mlt_8_kernelILi256EPKDF16_PKPK19rocblas_complex_numIfEPKPS3_EviT0_lT1_llT2_lli: ; @_ZL26rocblas_haxpy_mlt_8_kernelILi256EPKDF16_PKPK19rocblas_complex_numIfEPKPS3_EviT0_lT1_llT2_lli
; %bb.0:
	s_load_dwordx8 s[8:15], s[4:5], 0x8
	v_mov_b32_e32 v1, 0
	s_waitcnt lgkmcnt(0)
	s_mul_i32 s1, s11, s7
	s_mul_hi_u32 s2, s10, s7
	s_add_i32 s3, s2, s1
	s_mul_i32 s2, s10, s7
	s_lshl_b64 s[2:3], s[2:3], 1
	s_add_u32 s2, s8, s2
	s_addc_u32 s3, s9, s3
	global_load_ushort v2, v1, s[2:3]
	s_mov_b32 s1, 0
	s_waitcnt vmcnt(0)
	v_and_b32_e32 v3, 0xffff, v2
	v_lshl_or_b32 v3, v2, 16, v3
	v_and_b32_e32 v3, 0x7fff, v3
	v_cmp_eq_u32_e32 vcc, 0, v3
	s_cbranch_vccnz .LBB72_3
; %bb.1:
	s_load_dword s2, s[4:5], 0x0
	v_lshl_or_b32 v0, s6, 8, v0
	v_lshlrev_b64 v[0:1], 3, v[0:1]
	s_waitcnt lgkmcnt(0)
	s_ashr_i32 s3, s2, 31
	v_cmp_gt_i64_e32 vcc, s[2:3], v[0:1]
	s_and_saveexec_b64 s[2:3], vcc
	s_cbranch_execz .LBB72_3
; %bb.2:
	s_mov_b32 s0, s7
	s_lshl_b64 s[6:7], s[0:1], 3
	s_add_u32 s8, s12, s6
	s_addc_u32 s9, s13, s7
	s_load_dwordx2 s[10:11], s[8:9], 0x0
	s_load_dwordx4 s[0:3], s[4:5], 0x30
	s_lshl_b64 s[4:5], s[14:15], 3
	v_lshlrev_b64 v[0:1], 3, v[0:1]
	s_waitcnt lgkmcnt(0)
	s_add_u32 s4, s10, s4
	s_addc_u32 s5, s11, s5
	s_add_u32 s0, s0, s6
	s_addc_u32 s1, s1, s7
	s_load_dwordx2 s[0:1], s[0:1], 0x0
	s_lshl_b64 s[2:3], s[2:3], 3
	v_mov_b32_e32 v3, s5
	v_add_co_u32_e32 v11, vcc, s4, v0
	s_waitcnt lgkmcnt(0)
	s_add_u32 s0, s0, s2
	v_addc_co_u32_e32 v12, vcc, v3, v1, vcc
	s_addc_u32 s1, s1, s3
	v_mov_b32_e32 v3, s1
	v_add_co_u32_e32 v0, vcc, s0, v0
	v_addc_co_u32_e32 v1, vcc, v3, v1, vcc
	flat_load_dwordx4 v[3:6], v[11:12]
	flat_load_dwordx4 v[7:10], v[0:1]
	s_waitcnt vmcnt(0) lgkmcnt(0)
	v_pk_fma_f16 v6, v2, v6, v10 op_sel_hi:[0,1,1]
	v_pk_fma_f16 v5, v2, v5, v9 op_sel_hi:[0,1,1]
	;; [unrolled: 1-line block ×4, first 2 shown]
	flat_store_dwordx4 v[0:1], v[3:6]
.LBB72_3:
	s_endpgm
	.section	.rodata,"a",@progbits
	.p2align	6, 0x0
	.amdhsa_kernel _ZL26rocblas_haxpy_mlt_8_kernelILi256EPKDF16_PKPK19rocblas_complex_numIfEPKPS3_EviT0_lT1_llT2_lli
		.amdhsa_group_segment_fixed_size 0
		.amdhsa_private_segment_fixed_size 0
		.amdhsa_kernarg_size 76
		.amdhsa_user_sgpr_count 6
		.amdhsa_user_sgpr_private_segment_buffer 1
		.amdhsa_user_sgpr_dispatch_ptr 0
		.amdhsa_user_sgpr_queue_ptr 0
		.amdhsa_user_sgpr_kernarg_segment_ptr 1
		.amdhsa_user_sgpr_dispatch_id 0
		.amdhsa_user_sgpr_flat_scratch_init 0
		.amdhsa_user_sgpr_private_segment_size 0
		.amdhsa_uses_dynamic_stack 0
		.amdhsa_system_sgpr_private_segment_wavefront_offset 0
		.amdhsa_system_sgpr_workgroup_id_x 1
		.amdhsa_system_sgpr_workgroup_id_y 0
		.amdhsa_system_sgpr_workgroup_id_z 1
		.amdhsa_system_sgpr_workgroup_info 0
		.amdhsa_system_vgpr_workitem_id 0
		.amdhsa_next_free_vgpr 13
		.amdhsa_next_free_sgpr 16
		.amdhsa_reserve_vcc 1
		.amdhsa_reserve_flat_scratch 0
		.amdhsa_float_round_mode_32 0
		.amdhsa_float_round_mode_16_64 0
		.amdhsa_float_denorm_mode_32 3
		.amdhsa_float_denorm_mode_16_64 3
		.amdhsa_dx10_clamp 1
		.amdhsa_ieee_mode 1
		.amdhsa_fp16_overflow 0
		.amdhsa_exception_fp_ieee_invalid_op 0
		.amdhsa_exception_fp_denorm_src 0
		.amdhsa_exception_fp_ieee_div_zero 0
		.amdhsa_exception_fp_ieee_overflow 0
		.amdhsa_exception_fp_ieee_underflow 0
		.amdhsa_exception_fp_ieee_inexact 0
		.amdhsa_exception_int_div_zero 0
	.end_amdhsa_kernel
	.section	.text._ZL26rocblas_haxpy_mlt_8_kernelILi256EPKDF16_PKPK19rocblas_complex_numIfEPKPS3_EviT0_lT1_llT2_lli,"axG",@progbits,_ZL26rocblas_haxpy_mlt_8_kernelILi256EPKDF16_PKPK19rocblas_complex_numIfEPKPS3_EviT0_lT1_llT2_lli,comdat
.Lfunc_end72:
	.size	_ZL26rocblas_haxpy_mlt_8_kernelILi256EPKDF16_PKPK19rocblas_complex_numIfEPKPS3_EviT0_lT1_llT2_lli, .Lfunc_end72-_ZL26rocblas_haxpy_mlt_8_kernelILi256EPKDF16_PKPK19rocblas_complex_numIfEPKPS3_EviT0_lT1_llT2_lli
                                        ; -- End function
	.set _ZL26rocblas_haxpy_mlt_8_kernelILi256EPKDF16_PKPK19rocblas_complex_numIfEPKPS3_EviT0_lT1_llT2_lli.num_vgpr, 13
	.set _ZL26rocblas_haxpy_mlt_8_kernelILi256EPKDF16_PKPK19rocblas_complex_numIfEPKPS3_EviT0_lT1_llT2_lli.num_agpr, 0
	.set _ZL26rocblas_haxpy_mlt_8_kernelILi256EPKDF16_PKPK19rocblas_complex_numIfEPKPS3_EviT0_lT1_llT2_lli.numbered_sgpr, 16
	.set _ZL26rocblas_haxpy_mlt_8_kernelILi256EPKDF16_PKPK19rocblas_complex_numIfEPKPS3_EviT0_lT1_llT2_lli.num_named_barrier, 0
	.set _ZL26rocblas_haxpy_mlt_8_kernelILi256EPKDF16_PKPK19rocblas_complex_numIfEPKPS3_EviT0_lT1_llT2_lli.private_seg_size, 0
	.set _ZL26rocblas_haxpy_mlt_8_kernelILi256EPKDF16_PKPK19rocblas_complex_numIfEPKPS3_EviT0_lT1_llT2_lli.uses_vcc, 1
	.set _ZL26rocblas_haxpy_mlt_8_kernelILi256EPKDF16_PKPK19rocblas_complex_numIfEPKPS3_EviT0_lT1_llT2_lli.uses_flat_scratch, 0
	.set _ZL26rocblas_haxpy_mlt_8_kernelILi256EPKDF16_PKPK19rocblas_complex_numIfEPKPS3_EviT0_lT1_llT2_lli.has_dyn_sized_stack, 0
	.set _ZL26rocblas_haxpy_mlt_8_kernelILi256EPKDF16_PKPK19rocblas_complex_numIfEPKPS3_EviT0_lT1_llT2_lli.has_recursion, 0
	.set _ZL26rocblas_haxpy_mlt_8_kernelILi256EPKDF16_PKPK19rocblas_complex_numIfEPKPS3_EviT0_lT1_llT2_lli.has_indirect_call, 0
	.section	.AMDGPU.csdata,"",@progbits
; Kernel info:
; codeLenInByte = 312
; TotalNumSgprs: 20
; NumVgprs: 13
; ScratchSize: 0
; MemoryBound: 0
; FloatMode: 240
; IeeeMode: 1
; LDSByteSize: 0 bytes/workgroup (compile time only)
; SGPRBlocks: 2
; VGPRBlocks: 3
; NumSGPRsForWavesPerEU: 20
; NumVGPRsForWavesPerEU: 13
; Occupancy: 10
; WaveLimiterHint : 1
; COMPUTE_PGM_RSRC2:SCRATCH_EN: 0
; COMPUTE_PGM_RSRC2:USER_SGPR: 6
; COMPUTE_PGM_RSRC2:TRAP_HANDLER: 0
; COMPUTE_PGM_RSRC2:TGID_X_EN: 1
; COMPUTE_PGM_RSRC2:TGID_Y_EN: 0
; COMPUTE_PGM_RSRC2:TGID_Z_EN: 1
; COMPUTE_PGM_RSRC2:TIDIG_COMP_CNT: 0
	.section	.text._ZL26rocblas_haxpy_mod_8_kernelILi256EPK19rocblas_complex_numIfEPKS3_PKPS1_EviT0_lT1_llT2_lli,"axG",@progbits,_ZL26rocblas_haxpy_mod_8_kernelILi256EPK19rocblas_complex_numIfEPKS3_PKPS1_EviT0_lT1_llT2_lli,comdat
	.globl	_ZL26rocblas_haxpy_mod_8_kernelILi256EPK19rocblas_complex_numIfEPKS3_PKPS1_EviT0_lT1_llT2_lli ; -- Begin function _ZL26rocblas_haxpy_mod_8_kernelILi256EPK19rocblas_complex_numIfEPKS3_PKPS1_EviT0_lT1_llT2_lli
	.p2align	8
	.type	_ZL26rocblas_haxpy_mod_8_kernelILi256EPK19rocblas_complex_numIfEPKS3_PKPS1_EviT0_lT1_llT2_lli,@function
_ZL26rocblas_haxpy_mod_8_kernelILi256EPK19rocblas_complex_numIfEPKS3_PKPS1_EviT0_lT1_llT2_lli: ; @_ZL26rocblas_haxpy_mod_8_kernelILi256EPK19rocblas_complex_numIfEPKS3_PKPS1_EviT0_lT1_llT2_lli
; %bb.0:
	s_load_dword s16, s[4:5], 0x0
	s_load_dwordx8 s[8:15], s[4:5], 0x8
	v_lshl_or_b32 v0, s6, 8, v0
	v_mov_b32_e32 v1, 0
	s_mov_b32 s2, s7
	s_waitcnt lgkmcnt(0)
	s_ashr_i32 s17, s16, 31
	s_mul_i32 s0, s11, s7
	s_mul_hi_u32 s1, s10, s7
	s_add_i32 s1, s1, s0
	s_mul_i32 s0, s10, s7
	s_lshl_b64 s[0:1], s[0:1], 3
	s_add_u32 s8, s8, s0
	s_addc_u32 s9, s9, s1
	s_load_dwordx2 s[0:1], s[8:9], 0x0
	v_cmp_gt_i64_e32 vcc, s[16:17], v[0:1]
	s_mov_b32 s3, 0
	s_waitcnt lgkmcnt(0)
	s_or_b32 s6, s0, s1
	s_bitset0_b32 s6, 31
	s_cmp_lg_u32 s6, 0
	s_cselect_b64 s[6:7], -1, 0
	s_and_b64 s[6:7], vcc, s[6:7]
	s_and_saveexec_b64 s[8:9], s[6:7]
	s_cbranch_execz .LBB73_2
; %bb.1:
	s_lshl_b64 s[2:3], s[2:3], 3
	s_add_u32 s6, s12, s2
	s_addc_u32 s7, s13, s3
	s_load_dwordx2 s[12:13], s[6:7], 0x0
	s_load_dwordx4 s[8:11], s[4:5], 0x30
	s_lshl_b64 s[4:5], s[14:15], 3
	v_lshlrev_b64 v[0:1], 3, v[0:1]
	s_waitcnt lgkmcnt(0)
	s_add_u32 s4, s12, s4
	s_addc_u32 s5, s13, s5
	s_add_u32 s2, s8, s2
	s_addc_u32 s3, s9, s3
	s_load_dwordx2 s[2:3], s[2:3], 0x0
	v_mov_b32_e32 v3, s5
	v_add_co_u32_e32 v2, vcc, s4, v0
	s_lshl_b64 s[4:5], s[10:11], 3
	s_waitcnt lgkmcnt(0)
	s_add_u32 s2, s2, s4
	v_addc_co_u32_e32 v3, vcc, v3, v1, vcc
	s_addc_u32 s3, s3, s5
	v_mov_b32_e32 v4, s3
	flat_load_dwordx2 v[2:3], v[2:3]
	v_add_co_u32_e32 v0, vcc, s2, v0
	v_addc_co_u32_e32 v1, vcc, v4, v1, vcc
	flat_load_dwordx2 v[4:5], v[0:1]
	s_waitcnt vmcnt(0) lgkmcnt(0)
	v_mul_f32_e32 v6, s1, v3
	v_mul_f32_e32 v3, s0, v3
	v_fma_f32 v6, v2, s0, -v6
	v_fmac_f32_e32 v3, s1, v2
	v_add_f32_e32 v2, v4, v6
	v_add_f32_e32 v3, v3, v5
	flat_store_dwordx2 v[0:1], v[2:3]
.LBB73_2:
	s_endpgm
	.section	.rodata,"a",@progbits
	.p2align	6, 0x0
	.amdhsa_kernel _ZL26rocblas_haxpy_mod_8_kernelILi256EPK19rocblas_complex_numIfEPKS3_PKPS1_EviT0_lT1_llT2_lli
		.amdhsa_group_segment_fixed_size 0
		.amdhsa_private_segment_fixed_size 0
		.amdhsa_kernarg_size 76
		.amdhsa_user_sgpr_count 6
		.amdhsa_user_sgpr_private_segment_buffer 1
		.amdhsa_user_sgpr_dispatch_ptr 0
		.amdhsa_user_sgpr_queue_ptr 0
		.amdhsa_user_sgpr_kernarg_segment_ptr 1
		.amdhsa_user_sgpr_dispatch_id 0
		.amdhsa_user_sgpr_flat_scratch_init 0
		.amdhsa_user_sgpr_private_segment_size 0
		.amdhsa_uses_dynamic_stack 0
		.amdhsa_system_sgpr_private_segment_wavefront_offset 0
		.amdhsa_system_sgpr_workgroup_id_x 1
		.amdhsa_system_sgpr_workgroup_id_y 0
		.amdhsa_system_sgpr_workgroup_id_z 1
		.amdhsa_system_sgpr_workgroup_info 0
		.amdhsa_system_vgpr_workitem_id 0
		.amdhsa_next_free_vgpr 7
		.amdhsa_next_free_sgpr 18
		.amdhsa_reserve_vcc 1
		.amdhsa_reserve_flat_scratch 0
		.amdhsa_float_round_mode_32 0
		.amdhsa_float_round_mode_16_64 0
		.amdhsa_float_denorm_mode_32 3
		.amdhsa_float_denorm_mode_16_64 3
		.amdhsa_dx10_clamp 1
		.amdhsa_ieee_mode 1
		.amdhsa_fp16_overflow 0
		.amdhsa_exception_fp_ieee_invalid_op 0
		.amdhsa_exception_fp_denorm_src 0
		.amdhsa_exception_fp_ieee_div_zero 0
		.amdhsa_exception_fp_ieee_overflow 0
		.amdhsa_exception_fp_ieee_underflow 0
		.amdhsa_exception_fp_ieee_inexact 0
		.amdhsa_exception_int_div_zero 0
	.end_amdhsa_kernel
	.section	.text._ZL26rocblas_haxpy_mod_8_kernelILi256EPK19rocblas_complex_numIfEPKS3_PKPS1_EviT0_lT1_llT2_lli,"axG",@progbits,_ZL26rocblas_haxpy_mod_8_kernelILi256EPK19rocblas_complex_numIfEPKS3_PKPS1_EviT0_lT1_llT2_lli,comdat
.Lfunc_end73:
	.size	_ZL26rocblas_haxpy_mod_8_kernelILi256EPK19rocblas_complex_numIfEPKS3_PKPS1_EviT0_lT1_llT2_lli, .Lfunc_end73-_ZL26rocblas_haxpy_mod_8_kernelILi256EPK19rocblas_complex_numIfEPKS3_PKPS1_EviT0_lT1_llT2_lli
                                        ; -- End function
	.set _ZL26rocblas_haxpy_mod_8_kernelILi256EPK19rocblas_complex_numIfEPKS3_PKPS1_EviT0_lT1_llT2_lli.num_vgpr, 7
	.set _ZL26rocblas_haxpy_mod_8_kernelILi256EPK19rocblas_complex_numIfEPKS3_PKPS1_EviT0_lT1_llT2_lli.num_agpr, 0
	.set _ZL26rocblas_haxpy_mod_8_kernelILi256EPK19rocblas_complex_numIfEPKS3_PKPS1_EviT0_lT1_llT2_lli.numbered_sgpr, 18
	.set _ZL26rocblas_haxpy_mod_8_kernelILi256EPK19rocblas_complex_numIfEPKS3_PKPS1_EviT0_lT1_llT2_lli.num_named_barrier, 0
	.set _ZL26rocblas_haxpy_mod_8_kernelILi256EPK19rocblas_complex_numIfEPKS3_PKPS1_EviT0_lT1_llT2_lli.private_seg_size, 0
	.set _ZL26rocblas_haxpy_mod_8_kernelILi256EPK19rocblas_complex_numIfEPKS3_PKPS1_EviT0_lT1_llT2_lli.uses_vcc, 1
	.set _ZL26rocblas_haxpy_mod_8_kernelILi256EPK19rocblas_complex_numIfEPKS3_PKPS1_EviT0_lT1_llT2_lli.uses_flat_scratch, 0
	.set _ZL26rocblas_haxpy_mod_8_kernelILi256EPK19rocblas_complex_numIfEPKS3_PKPS1_EviT0_lT1_llT2_lli.has_dyn_sized_stack, 0
	.set _ZL26rocblas_haxpy_mod_8_kernelILi256EPK19rocblas_complex_numIfEPKS3_PKPS1_EviT0_lT1_llT2_lli.has_recursion, 0
	.set _ZL26rocblas_haxpy_mod_8_kernelILi256EPK19rocblas_complex_numIfEPKS3_PKPS1_EviT0_lT1_llT2_lli.has_indirect_call, 0
	.section	.AMDGPU.csdata,"",@progbits
; Kernel info:
; codeLenInByte = 284
; TotalNumSgprs: 22
; NumVgprs: 7
; ScratchSize: 0
; MemoryBound: 0
; FloatMode: 240
; IeeeMode: 1
; LDSByteSize: 0 bytes/workgroup (compile time only)
; SGPRBlocks: 2
; VGPRBlocks: 1
; NumSGPRsForWavesPerEU: 22
; NumVGPRsForWavesPerEU: 7
; Occupancy: 10
; WaveLimiterHint : 1
; COMPUTE_PGM_RSRC2:SCRATCH_EN: 0
; COMPUTE_PGM_RSRC2:USER_SGPR: 6
; COMPUTE_PGM_RSRC2:TRAP_HANDLER: 0
; COMPUTE_PGM_RSRC2:TGID_X_EN: 1
; COMPUTE_PGM_RSRC2:TGID_Y_EN: 0
; COMPUTE_PGM_RSRC2:TGID_Z_EN: 1
; COMPUTE_PGM_RSRC2:TIDIG_COMP_CNT: 0
	.section	.text._ZL26rocblas_haxpy_mlt_8_kernelILi256EDF16_PKPK19rocblas_complex_numIfEPKPS1_EviT0_lT1_llT2_lli,"axG",@progbits,_ZL26rocblas_haxpy_mlt_8_kernelILi256EDF16_PKPK19rocblas_complex_numIfEPKPS1_EviT0_lT1_llT2_lli,comdat
	.globl	_ZL26rocblas_haxpy_mlt_8_kernelILi256EDF16_PKPK19rocblas_complex_numIfEPKPS1_EviT0_lT1_llT2_lli ; -- Begin function _ZL26rocblas_haxpy_mlt_8_kernelILi256EDF16_PKPK19rocblas_complex_numIfEPKPS1_EviT0_lT1_llT2_lli
	.p2align	8
	.type	_ZL26rocblas_haxpy_mlt_8_kernelILi256EDF16_PKPK19rocblas_complex_numIfEPKPS1_EviT0_lT1_llT2_lli,@function
_ZL26rocblas_haxpy_mlt_8_kernelILi256EDF16_PKPK19rocblas_complex_numIfEPKPS1_EviT0_lT1_llT2_lli: ; @_ZL26rocblas_haxpy_mlt_8_kernelILi256EDF16_PKPK19rocblas_complex_numIfEPKPS1_EviT0_lT1_llT2_lli
; %bb.0:
	s_load_dwordx2 s[0:1], s[4:5], 0x0
	s_waitcnt lgkmcnt(0)
	s_pack_ll_b32_b16 s3, s1, s1
	s_and_b32 s3, s3, 0x7fff
	s_cmp_eq_u32 s3, 0
	s_cbranch_scc1 .LBB74_3
; %bb.1:
	v_lshl_or_b32 v0, s6, 8, v0
	v_mov_b32_e32 v1, 0
	v_lshlrev_b64 v[0:1], 3, v[0:1]
	s_mov_b32 s2, s7
	s_ashr_i32 s7, s0, 31
	s_mov_b32 s6, s0
	v_cmp_gt_i64_e32 vcc, s[6:7], v[0:1]
	s_and_saveexec_b64 s[6:7], vcc
	s_cbranch_execz .LBB74_3
; %bb.2:
	s_load_dwordx4 s[8:11], s[4:5], 0x10
	s_load_dwordx4 s[12:15], s[4:5], 0x28
	s_mov_b32 s3, 0
	s_lshl_b64 s[2:3], s[2:3], 3
	v_lshlrev_b64 v[0:1], 3, v[0:1]
	s_waitcnt lgkmcnt(0)
	s_add_u32 s4, s8, s2
	s_addc_u32 s5, s9, s3
	s_load_dwordx2 s[4:5], s[4:5], 0x0
	s_lshl_b64 s[6:7], s[10:11], 3
	s_waitcnt lgkmcnt(0)
	s_add_u32 s0, s4, s6
	s_addc_u32 s4, s5, s7
	s_add_u32 s2, s12, s2
	s_addc_u32 s3, s13, s3
	s_load_dwordx2 s[2:3], s[2:3], 0x0
	v_mov_b32_e32 v2, s4
	s_lshl_b64 s[4:5], s[14:15], 3
	v_add_co_u32_e32 v8, vcc, s0, v0
	s_waitcnt lgkmcnt(0)
	s_add_u32 s0, s2, s4
	v_addc_co_u32_e32 v9, vcc, v2, v1, vcc
	s_addc_u32 s2, s3, s5
	v_mov_b32_e32 v2, s2
	v_add_co_u32_e32 v10, vcc, s0, v0
	v_addc_co_u32_e32 v11, vcc, v2, v1, vcc
	flat_load_dwordx4 v[0:3], v[8:9]
	flat_load_dwordx4 v[4:7], v[10:11]
	s_waitcnt vmcnt(0) lgkmcnt(0)
	v_pk_fma_f16 v3, s1, v3, v7 op_sel_hi:[0,1,1]
	v_pk_fma_f16 v2, s1, v2, v6 op_sel_hi:[0,1,1]
	;; [unrolled: 1-line block ×4, first 2 shown]
	flat_store_dwordx4 v[10:11], v[0:3]
.LBB74_3:
	s_endpgm
	.section	.rodata,"a",@progbits
	.p2align	6, 0x0
	.amdhsa_kernel _ZL26rocblas_haxpy_mlt_8_kernelILi256EDF16_PKPK19rocblas_complex_numIfEPKPS1_EviT0_lT1_llT2_lli
		.amdhsa_group_segment_fixed_size 0
		.amdhsa_private_segment_fixed_size 0
		.amdhsa_kernarg_size 68
		.amdhsa_user_sgpr_count 6
		.amdhsa_user_sgpr_private_segment_buffer 1
		.amdhsa_user_sgpr_dispatch_ptr 0
		.amdhsa_user_sgpr_queue_ptr 0
		.amdhsa_user_sgpr_kernarg_segment_ptr 1
		.amdhsa_user_sgpr_dispatch_id 0
		.amdhsa_user_sgpr_flat_scratch_init 0
		.amdhsa_user_sgpr_private_segment_size 0
		.amdhsa_uses_dynamic_stack 0
		.amdhsa_system_sgpr_private_segment_wavefront_offset 0
		.amdhsa_system_sgpr_workgroup_id_x 1
		.amdhsa_system_sgpr_workgroup_id_y 0
		.amdhsa_system_sgpr_workgroup_id_z 1
		.amdhsa_system_sgpr_workgroup_info 0
		.amdhsa_system_vgpr_workitem_id 0
		.amdhsa_next_free_vgpr 12
		.amdhsa_next_free_sgpr 16
		.amdhsa_reserve_vcc 1
		.amdhsa_reserve_flat_scratch 0
		.amdhsa_float_round_mode_32 0
		.amdhsa_float_round_mode_16_64 0
		.amdhsa_float_denorm_mode_32 3
		.amdhsa_float_denorm_mode_16_64 3
		.amdhsa_dx10_clamp 1
		.amdhsa_ieee_mode 1
		.amdhsa_fp16_overflow 0
		.amdhsa_exception_fp_ieee_invalid_op 0
		.amdhsa_exception_fp_denorm_src 0
		.amdhsa_exception_fp_ieee_div_zero 0
		.amdhsa_exception_fp_ieee_overflow 0
		.amdhsa_exception_fp_ieee_underflow 0
		.amdhsa_exception_fp_ieee_inexact 0
		.amdhsa_exception_int_div_zero 0
	.end_amdhsa_kernel
	.section	.text._ZL26rocblas_haxpy_mlt_8_kernelILi256EDF16_PKPK19rocblas_complex_numIfEPKPS1_EviT0_lT1_llT2_lli,"axG",@progbits,_ZL26rocblas_haxpy_mlt_8_kernelILi256EDF16_PKPK19rocblas_complex_numIfEPKPS1_EviT0_lT1_llT2_lli,comdat
.Lfunc_end74:
	.size	_ZL26rocblas_haxpy_mlt_8_kernelILi256EDF16_PKPK19rocblas_complex_numIfEPKPS1_EviT0_lT1_llT2_lli, .Lfunc_end74-_ZL26rocblas_haxpy_mlt_8_kernelILi256EDF16_PKPK19rocblas_complex_numIfEPKPS1_EviT0_lT1_llT2_lli
                                        ; -- End function
	.set _ZL26rocblas_haxpy_mlt_8_kernelILi256EDF16_PKPK19rocblas_complex_numIfEPKPS1_EviT0_lT1_llT2_lli.num_vgpr, 12
	.set _ZL26rocblas_haxpy_mlt_8_kernelILi256EDF16_PKPK19rocblas_complex_numIfEPKPS1_EviT0_lT1_llT2_lli.num_agpr, 0
	.set _ZL26rocblas_haxpy_mlt_8_kernelILi256EDF16_PKPK19rocblas_complex_numIfEPKPS1_EviT0_lT1_llT2_lli.numbered_sgpr, 16
	.set _ZL26rocblas_haxpy_mlt_8_kernelILi256EDF16_PKPK19rocblas_complex_numIfEPKPS1_EviT0_lT1_llT2_lli.num_named_barrier, 0
	.set _ZL26rocblas_haxpy_mlt_8_kernelILi256EDF16_PKPK19rocblas_complex_numIfEPKPS1_EviT0_lT1_llT2_lli.private_seg_size, 0
	.set _ZL26rocblas_haxpy_mlt_8_kernelILi256EDF16_PKPK19rocblas_complex_numIfEPKPS1_EviT0_lT1_llT2_lli.uses_vcc, 1
	.set _ZL26rocblas_haxpy_mlt_8_kernelILi256EDF16_PKPK19rocblas_complex_numIfEPKPS1_EviT0_lT1_llT2_lli.uses_flat_scratch, 0
	.set _ZL26rocblas_haxpy_mlt_8_kernelILi256EDF16_PKPK19rocblas_complex_numIfEPKPS1_EviT0_lT1_llT2_lli.has_dyn_sized_stack, 0
	.set _ZL26rocblas_haxpy_mlt_8_kernelILi256EDF16_PKPK19rocblas_complex_numIfEPKPS1_EviT0_lT1_llT2_lli.has_recursion, 0
	.set _ZL26rocblas_haxpy_mlt_8_kernelILi256EDF16_PKPK19rocblas_complex_numIfEPKPS1_EviT0_lT1_llT2_lli.has_indirect_call, 0
	.section	.AMDGPU.csdata,"",@progbits
; Kernel info:
; codeLenInByte = 264
; TotalNumSgprs: 20
; NumVgprs: 12
; ScratchSize: 0
; MemoryBound: 0
; FloatMode: 240
; IeeeMode: 1
; LDSByteSize: 0 bytes/workgroup (compile time only)
; SGPRBlocks: 2
; VGPRBlocks: 2
; NumSGPRsForWavesPerEU: 20
; NumVGPRsForWavesPerEU: 12
; Occupancy: 10
; WaveLimiterHint : 1
; COMPUTE_PGM_RSRC2:SCRATCH_EN: 0
; COMPUTE_PGM_RSRC2:USER_SGPR: 6
; COMPUTE_PGM_RSRC2:TRAP_HANDLER: 0
; COMPUTE_PGM_RSRC2:TGID_X_EN: 1
; COMPUTE_PGM_RSRC2:TGID_Y_EN: 0
; COMPUTE_PGM_RSRC2:TGID_Z_EN: 1
; COMPUTE_PGM_RSRC2:TIDIG_COMP_CNT: 0
	.section	.text._ZL26rocblas_haxpy_mod_8_kernelILi256E19rocblas_complex_numIfEPKPKS1_PKPS1_EviT0_lT1_llT2_lli,"axG",@progbits,_ZL26rocblas_haxpy_mod_8_kernelILi256E19rocblas_complex_numIfEPKPKS1_PKPS1_EviT0_lT1_llT2_lli,comdat
	.globl	_ZL26rocblas_haxpy_mod_8_kernelILi256E19rocblas_complex_numIfEPKPKS1_PKPS1_EviT0_lT1_llT2_lli ; -- Begin function _ZL26rocblas_haxpy_mod_8_kernelILi256E19rocblas_complex_numIfEPKPKS1_PKPS1_EviT0_lT1_llT2_lli
	.p2align	8
	.type	_ZL26rocblas_haxpy_mod_8_kernelILi256E19rocblas_complex_numIfEPKPKS1_PKPS1_EviT0_lT1_llT2_lli,@function
_ZL26rocblas_haxpy_mod_8_kernelILi256E19rocblas_complex_numIfEPKPKS1_PKPS1_EviT0_lT1_llT2_lli: ; @_ZL26rocblas_haxpy_mod_8_kernelILi256E19rocblas_complex_numIfEPKPKS1_PKPS1_EviT0_lT1_llT2_lli
; %bb.0:
	s_load_dwordx4 s[0:3], s[4:5], 0x0
	s_mov_b32 s8, s7
	v_lshl_or_b32 v0, s6, 8, v0
	v_mov_b32_e32 v1, 0
	s_mov_b32 s9, 0
	s_waitcnt lgkmcnt(0)
	s_or_b32 s3, s1, s2
	s_bitset0_b32 s3, 31
	s_cmp_lg_u32 s3, 0
	s_cselect_b64 s[6:7], -1, 0
	s_ashr_i32 s11, s0, 31
	s_mov_b32 s10, s0
	v_cmp_gt_i64_e32 vcc, s[10:11], v[0:1]
	s_and_b64 s[6:7], vcc, s[6:7]
	s_and_saveexec_b64 s[10:11], s[6:7]
	s_cbranch_execz .LBB75_2
; %bb.1:
	s_load_dwordx4 s[12:15], s[4:5], 0x18
	s_load_dwordx4 s[16:19], s[4:5], 0x30
	s_lshl_b64 s[4:5], s[8:9], 3
	v_lshlrev_b64 v[0:1], 3, v[0:1]
	s_waitcnt lgkmcnt(0)
	s_add_u32 s6, s12, s4
	s_addc_u32 s7, s13, s5
	s_load_dwordx2 s[6:7], s[6:7], 0x0
	s_lshl_b64 s[8:9], s[14:15], 3
	s_waitcnt lgkmcnt(0)
	s_add_u32 s0, s6, s8
	s_addc_u32 s3, s7, s9
	s_add_u32 s4, s16, s4
	s_addc_u32 s5, s17, s5
	s_load_dwordx2 s[4:5], s[4:5], 0x0
	s_lshl_b64 s[6:7], s[18:19], 3
	v_mov_b32_e32 v3, s3
	v_add_co_u32_e32 v2, vcc, s0, v0
	s_waitcnt lgkmcnt(0)
	s_add_u32 s0, s4, s6
	v_addc_co_u32_e32 v3, vcc, v3, v1, vcc
	s_addc_u32 s3, s5, s7
	flat_load_dwordx2 v[2:3], v[2:3]
	v_mov_b32_e32 v4, s3
	v_add_co_u32_e32 v0, vcc, s0, v0
	v_addc_co_u32_e32 v1, vcc, v4, v1, vcc
	flat_load_dwordx2 v[4:5], v[0:1]
	s_waitcnt vmcnt(0) lgkmcnt(0)
	v_mul_f32_e32 v6, s2, v3
	v_mul_f32_e32 v3, s1, v3
	v_fma_f32 v6, v2, s1, -v6
	v_fmac_f32_e32 v3, s2, v2
	v_add_f32_e32 v2, v4, v6
	v_add_f32_e32 v3, v3, v5
	flat_store_dwordx2 v[0:1], v[2:3]
.LBB75_2:
	s_endpgm
	.section	.rodata,"a",@progbits
	.p2align	6, 0x0
	.amdhsa_kernel _ZL26rocblas_haxpy_mod_8_kernelILi256E19rocblas_complex_numIfEPKPKS1_PKPS1_EviT0_lT1_llT2_lli
		.amdhsa_group_segment_fixed_size 0
		.amdhsa_private_segment_fixed_size 0
		.amdhsa_kernarg_size 76
		.amdhsa_user_sgpr_count 6
		.amdhsa_user_sgpr_private_segment_buffer 1
		.amdhsa_user_sgpr_dispatch_ptr 0
		.amdhsa_user_sgpr_queue_ptr 0
		.amdhsa_user_sgpr_kernarg_segment_ptr 1
		.amdhsa_user_sgpr_dispatch_id 0
		.amdhsa_user_sgpr_flat_scratch_init 0
		.amdhsa_user_sgpr_private_segment_size 0
		.amdhsa_uses_dynamic_stack 0
		.amdhsa_system_sgpr_private_segment_wavefront_offset 0
		.amdhsa_system_sgpr_workgroup_id_x 1
		.amdhsa_system_sgpr_workgroup_id_y 0
		.amdhsa_system_sgpr_workgroup_id_z 1
		.amdhsa_system_sgpr_workgroup_info 0
		.amdhsa_system_vgpr_workitem_id 0
		.amdhsa_next_free_vgpr 7
		.amdhsa_next_free_sgpr 20
		.amdhsa_reserve_vcc 1
		.amdhsa_reserve_flat_scratch 0
		.amdhsa_float_round_mode_32 0
		.amdhsa_float_round_mode_16_64 0
		.amdhsa_float_denorm_mode_32 3
		.amdhsa_float_denorm_mode_16_64 3
		.amdhsa_dx10_clamp 1
		.amdhsa_ieee_mode 1
		.amdhsa_fp16_overflow 0
		.amdhsa_exception_fp_ieee_invalid_op 0
		.amdhsa_exception_fp_denorm_src 0
		.amdhsa_exception_fp_ieee_div_zero 0
		.amdhsa_exception_fp_ieee_overflow 0
		.amdhsa_exception_fp_ieee_underflow 0
		.amdhsa_exception_fp_ieee_inexact 0
		.amdhsa_exception_int_div_zero 0
	.end_amdhsa_kernel
	.section	.text._ZL26rocblas_haxpy_mod_8_kernelILi256E19rocblas_complex_numIfEPKPKS1_PKPS1_EviT0_lT1_llT2_lli,"axG",@progbits,_ZL26rocblas_haxpy_mod_8_kernelILi256E19rocblas_complex_numIfEPKPKS1_PKPS1_EviT0_lT1_llT2_lli,comdat
.Lfunc_end75:
	.size	_ZL26rocblas_haxpy_mod_8_kernelILi256E19rocblas_complex_numIfEPKPKS1_PKPS1_EviT0_lT1_llT2_lli, .Lfunc_end75-_ZL26rocblas_haxpy_mod_8_kernelILi256E19rocblas_complex_numIfEPKPKS1_PKPS1_EviT0_lT1_llT2_lli
                                        ; -- End function
	.set _ZL26rocblas_haxpy_mod_8_kernelILi256E19rocblas_complex_numIfEPKPKS1_PKPS1_EviT0_lT1_llT2_lli.num_vgpr, 7
	.set _ZL26rocblas_haxpy_mod_8_kernelILi256E19rocblas_complex_numIfEPKPKS1_PKPS1_EviT0_lT1_llT2_lli.num_agpr, 0
	.set _ZL26rocblas_haxpy_mod_8_kernelILi256E19rocblas_complex_numIfEPKPKS1_PKPS1_EviT0_lT1_llT2_lli.numbered_sgpr, 20
	.set _ZL26rocblas_haxpy_mod_8_kernelILi256E19rocblas_complex_numIfEPKPKS1_PKPS1_EviT0_lT1_llT2_lli.num_named_barrier, 0
	.set _ZL26rocblas_haxpy_mod_8_kernelILi256E19rocblas_complex_numIfEPKPKS1_PKPS1_EviT0_lT1_llT2_lli.private_seg_size, 0
	.set _ZL26rocblas_haxpy_mod_8_kernelILi256E19rocblas_complex_numIfEPKPKS1_PKPS1_EviT0_lT1_llT2_lli.uses_vcc, 1
	.set _ZL26rocblas_haxpy_mod_8_kernelILi256E19rocblas_complex_numIfEPKPKS1_PKPS1_EviT0_lT1_llT2_lli.uses_flat_scratch, 0
	.set _ZL26rocblas_haxpy_mod_8_kernelILi256E19rocblas_complex_numIfEPKPKS1_PKPS1_EviT0_lT1_llT2_lli.has_dyn_sized_stack, 0
	.set _ZL26rocblas_haxpy_mod_8_kernelILi256E19rocblas_complex_numIfEPKPKS1_PKPS1_EviT0_lT1_llT2_lli.has_recursion, 0
	.set _ZL26rocblas_haxpy_mod_8_kernelILi256E19rocblas_complex_numIfEPKPKS1_PKPS1_EviT0_lT1_llT2_lli.has_indirect_call, 0
	.section	.AMDGPU.csdata,"",@progbits
; Kernel info:
; codeLenInByte = 252
; TotalNumSgprs: 24
; NumVgprs: 7
; ScratchSize: 0
; MemoryBound: 0
; FloatMode: 240
; IeeeMode: 1
; LDSByteSize: 0 bytes/workgroup (compile time only)
; SGPRBlocks: 2
; VGPRBlocks: 1
; NumSGPRsForWavesPerEU: 24
; NumVGPRsForWavesPerEU: 7
; Occupancy: 10
; WaveLimiterHint : 1
; COMPUTE_PGM_RSRC2:SCRATCH_EN: 0
; COMPUTE_PGM_RSRC2:USER_SGPR: 6
; COMPUTE_PGM_RSRC2:TRAP_HANDLER: 0
; COMPUTE_PGM_RSRC2:TGID_X_EN: 1
; COMPUTE_PGM_RSRC2:TGID_Y_EN: 0
; COMPUTE_PGM_RSRC2:TGID_Z_EN: 1
; COMPUTE_PGM_RSRC2:TIDIG_COMP_CNT: 0
	.section	.text._ZL22rocblas_saxpy_2_kernelILi256E19rocblas_complex_numIfEPKS1_PKS3_PKPS1_EviT1_lT2_llT3_lli,"axG",@progbits,_ZL22rocblas_saxpy_2_kernelILi256E19rocblas_complex_numIfEPKS1_PKS3_PKPS1_EviT1_lT2_llT3_lli,comdat
	.globl	_ZL22rocblas_saxpy_2_kernelILi256E19rocblas_complex_numIfEPKS1_PKS3_PKPS1_EviT1_lT2_llT3_lli ; -- Begin function _ZL22rocblas_saxpy_2_kernelILi256E19rocblas_complex_numIfEPKS1_PKS3_PKPS1_EviT1_lT2_llT3_lli
	.p2align	8
	.type	_ZL22rocblas_saxpy_2_kernelILi256E19rocblas_complex_numIfEPKS1_PKS3_PKPS1_EviT1_lT2_llT3_lli,@function
_ZL22rocblas_saxpy_2_kernelILi256E19rocblas_complex_numIfEPKS1_PKS3_PKPS1_EviT1_lT2_llT3_lli: ; @_ZL22rocblas_saxpy_2_kernelILi256E19rocblas_complex_numIfEPKS1_PKS3_PKPS1_EviT1_lT2_llT3_lli
; %bb.0:
	s_load_dwordx4 s[8:11], s[4:5], 0x8
	s_waitcnt lgkmcnt(0)
	s_mul_i32 s0, s11, s7
	s_mul_hi_u32 s1, s10, s7
	s_add_i32 s1, s1, s0
	s_mul_i32 s0, s10, s7
	s_lshl_b64 s[0:1], s[0:1], 3
	s_add_u32 s8, s8, s0
	s_addc_u32 s9, s9, s1
	s_load_dwordx2 s[0:1], s[8:9], 0x0
	s_waitcnt lgkmcnt(0)
	s_or_b32 s3, s0, s1
	s_bitset0_b32 s3, 31
	s_cmp_eq_u32 s3, 0
	s_mov_b32 s3, 0
	s_cbranch_scc1 .LBB76_5
; %bb.1:
	s_load_dwordx4 s[12:15], s[4:5], 0x18
	s_load_dword s8, s[4:5], 0x0
	s_mov_b32 s2, s7
	s_lshl_b64 s[2:3], s[2:3], 3
	v_lshlrev_b32_e32 v0, 1, v0
	s_waitcnt lgkmcnt(0)
	s_add_u32 s10, s12, s2
	s_addc_u32 s11, s13, s3
	s_load_dwordx2 s[12:13], s[10:11], 0x0
	s_load_dwordx4 s[16:19], s[4:5], 0x30
	s_lshl_b64 s[4:5], s[14:15], 3
	v_lshl_or_b32 v2, s6, 9, v0
	v_mov_b32_e32 v3, 0
	s_waitcnt lgkmcnt(0)
	s_add_u32 s7, s12, s4
	s_addc_u32 s9, s13, s5
	s_add_u32 s2, s16, s2
	s_addc_u32 s3, s17, s3
	s_load_dwordx2 s[2:3], s[2:3], 0x0
	s_lshl_b64 s[4:5], s[18:19], 3
	v_lshlrev_b64 v[0:1], 3, v[2:3]
	s_waitcnt lgkmcnt(0)
	s_add_u32 s6, s2, s4
	s_addc_u32 s10, s3, s5
	s_add_i32 s2, s8, -1
	s_ashr_i32 s3, s2, 31
	v_cmp_gt_i64_e32 vcc, s[2:3], v[2:3]
	s_and_saveexec_b64 s[4:5], vcc
	s_cbranch_execz .LBB76_3
; %bb.2:
	v_mov_b32_e32 v5, s9
	v_add_co_u32_e32 v8, vcc, s7, v0
	v_addc_co_u32_e32 v9, vcc, v5, v1, vcc
	v_mov_b32_e32 v4, s10
	flat_load_dwordx2 v[10:11], v[8:9]
	v_add_co_u32_e32 v12, vcc, s6, v0
	v_addc_co_u32_e32 v13, vcc, v4, v1, vcc
	flat_load_dwordx4 v[4:7], v[12:13]
	s_waitcnt vmcnt(0) lgkmcnt(0)
	v_mul_f32_e32 v14, s1, v11
	v_mul_f32_e32 v11, s0, v11
	v_fma_f32 v14, v10, s0, -v14
	v_fmac_f32_e32 v11, s1, v10
	v_add_f32_e32 v4, v14, v4
	v_add_f32_e32 v5, v11, v5
	flat_store_dwordx2 v[12:13], v[4:5]
	flat_load_dwordx2 v[4:5], v[8:9] offset:8
	s_waitcnt vmcnt(0) lgkmcnt(0)
	v_mul_f32_e32 v8, s1, v5
	v_mul_f32_e32 v5, s0, v5
	v_fma_f32 v8, v4, s0, -v8
	v_fmac_f32_e32 v5, s1, v4
	v_add_f32_e32 v4, v8, v6
	v_add_f32_e32 v5, v5, v7
	flat_store_dwordx2 v[12:13], v[4:5] offset:8
.LBB76_3:
	s_or_b64 exec, exec, s[4:5]
	s_bitcmp1_b32 s8, 0
	v_cmp_eq_u64_e32 vcc, s[2:3], v[2:3]
	s_cselect_b64 s[2:3], -1, 0
	s_and_b64 s[2:3], s[2:3], vcc
	s_and_saveexec_b64 s[4:5], s[2:3]
	s_cbranch_execz .LBB76_5
; %bb.4:
	v_mov_b32_e32 v3, s9
	v_add_co_u32_e32 v2, vcc, s7, v0
	v_addc_co_u32_e32 v3, vcc, v3, v1, vcc
	v_mov_b32_e32 v4, s10
	flat_load_dwordx2 v[2:3], v[2:3]
	v_add_co_u32_e32 v0, vcc, s6, v0
	v_addc_co_u32_e32 v1, vcc, v4, v1, vcc
	flat_load_dwordx2 v[4:5], v[0:1]
	s_waitcnt vmcnt(0) lgkmcnt(0)
	v_mul_f32_e32 v6, s1, v3
	v_mul_f32_e32 v3, s0, v3
	v_fma_f32 v6, v2, s0, -v6
	v_fmac_f32_e32 v3, s1, v2
	v_add_f32_e32 v2, v6, v4
	v_add_f32_e32 v3, v3, v5
	flat_store_dwordx2 v[0:1], v[2:3]
.LBB76_5:
	s_endpgm
	.section	.rodata,"a",@progbits
	.p2align	6, 0x0
	.amdhsa_kernel _ZL22rocblas_saxpy_2_kernelILi256E19rocblas_complex_numIfEPKS1_PKS3_PKPS1_EviT1_lT2_llT3_lli
		.amdhsa_group_segment_fixed_size 0
		.amdhsa_private_segment_fixed_size 0
		.amdhsa_kernarg_size 76
		.amdhsa_user_sgpr_count 6
		.amdhsa_user_sgpr_private_segment_buffer 1
		.amdhsa_user_sgpr_dispatch_ptr 0
		.amdhsa_user_sgpr_queue_ptr 0
		.amdhsa_user_sgpr_kernarg_segment_ptr 1
		.amdhsa_user_sgpr_dispatch_id 0
		.amdhsa_user_sgpr_flat_scratch_init 0
		.amdhsa_user_sgpr_private_segment_size 0
		.amdhsa_uses_dynamic_stack 0
		.amdhsa_system_sgpr_private_segment_wavefront_offset 0
		.amdhsa_system_sgpr_workgroup_id_x 1
		.amdhsa_system_sgpr_workgroup_id_y 0
		.amdhsa_system_sgpr_workgroup_id_z 1
		.amdhsa_system_sgpr_workgroup_info 0
		.amdhsa_system_vgpr_workitem_id 0
		.amdhsa_next_free_vgpr 15
		.amdhsa_next_free_sgpr 20
		.amdhsa_reserve_vcc 1
		.amdhsa_reserve_flat_scratch 0
		.amdhsa_float_round_mode_32 0
		.amdhsa_float_round_mode_16_64 0
		.amdhsa_float_denorm_mode_32 3
		.amdhsa_float_denorm_mode_16_64 3
		.amdhsa_dx10_clamp 1
		.amdhsa_ieee_mode 1
		.amdhsa_fp16_overflow 0
		.amdhsa_exception_fp_ieee_invalid_op 0
		.amdhsa_exception_fp_denorm_src 0
		.amdhsa_exception_fp_ieee_div_zero 0
		.amdhsa_exception_fp_ieee_overflow 0
		.amdhsa_exception_fp_ieee_underflow 0
		.amdhsa_exception_fp_ieee_inexact 0
		.amdhsa_exception_int_div_zero 0
	.end_amdhsa_kernel
	.section	.text._ZL22rocblas_saxpy_2_kernelILi256E19rocblas_complex_numIfEPKS1_PKS3_PKPS1_EviT1_lT2_llT3_lli,"axG",@progbits,_ZL22rocblas_saxpy_2_kernelILi256E19rocblas_complex_numIfEPKS1_PKS3_PKPS1_EviT1_lT2_llT3_lli,comdat
.Lfunc_end76:
	.size	_ZL22rocblas_saxpy_2_kernelILi256E19rocblas_complex_numIfEPKS1_PKS3_PKPS1_EviT1_lT2_llT3_lli, .Lfunc_end76-_ZL22rocblas_saxpy_2_kernelILi256E19rocblas_complex_numIfEPKS1_PKS3_PKPS1_EviT1_lT2_llT3_lli
                                        ; -- End function
	.set _ZL22rocblas_saxpy_2_kernelILi256E19rocblas_complex_numIfEPKS1_PKS3_PKPS1_EviT1_lT2_llT3_lli.num_vgpr, 15
	.set _ZL22rocblas_saxpy_2_kernelILi256E19rocblas_complex_numIfEPKS1_PKS3_PKPS1_EviT1_lT2_llT3_lli.num_agpr, 0
	.set _ZL22rocblas_saxpy_2_kernelILi256E19rocblas_complex_numIfEPKS1_PKS3_PKPS1_EviT1_lT2_llT3_lli.numbered_sgpr, 20
	.set _ZL22rocblas_saxpy_2_kernelILi256E19rocblas_complex_numIfEPKS1_PKS3_PKPS1_EviT1_lT2_llT3_lli.num_named_barrier, 0
	.set _ZL22rocblas_saxpy_2_kernelILi256E19rocblas_complex_numIfEPKS1_PKS3_PKPS1_EviT1_lT2_llT3_lli.private_seg_size, 0
	.set _ZL22rocblas_saxpy_2_kernelILi256E19rocblas_complex_numIfEPKS1_PKS3_PKPS1_EviT1_lT2_llT3_lli.uses_vcc, 1
	.set _ZL22rocblas_saxpy_2_kernelILi256E19rocblas_complex_numIfEPKS1_PKS3_PKPS1_EviT1_lT2_llT3_lli.uses_flat_scratch, 0
	.set _ZL22rocblas_saxpy_2_kernelILi256E19rocblas_complex_numIfEPKS1_PKS3_PKPS1_EviT1_lT2_llT3_lli.has_dyn_sized_stack, 0
	.set _ZL22rocblas_saxpy_2_kernelILi256E19rocblas_complex_numIfEPKS1_PKS3_PKPS1_EviT1_lT2_llT3_lli.has_recursion, 0
	.set _ZL22rocblas_saxpy_2_kernelILi256E19rocblas_complex_numIfEPKS1_PKS3_PKPS1_EviT1_lT2_llT3_lli.has_indirect_call, 0
	.section	.AMDGPU.csdata,"",@progbits
; Kernel info:
; codeLenInByte = 456
; TotalNumSgprs: 24
; NumVgprs: 15
; ScratchSize: 0
; MemoryBound: 0
; FloatMode: 240
; IeeeMode: 1
; LDSByteSize: 0 bytes/workgroup (compile time only)
; SGPRBlocks: 2
; VGPRBlocks: 3
; NumSGPRsForWavesPerEU: 24
; NumVGPRsForWavesPerEU: 15
; Occupancy: 10
; WaveLimiterHint : 1
; COMPUTE_PGM_RSRC2:SCRATCH_EN: 0
; COMPUTE_PGM_RSRC2:USER_SGPR: 6
; COMPUTE_PGM_RSRC2:TRAP_HANDLER: 0
; COMPUTE_PGM_RSRC2:TGID_X_EN: 1
; COMPUTE_PGM_RSRC2:TGID_Y_EN: 0
; COMPUTE_PGM_RSRC2:TGID_Z_EN: 1
; COMPUTE_PGM_RSRC2:TIDIG_COMP_CNT: 0
	.section	.text._ZL22rocblas_saxpy_2_kernelILi256E19rocblas_complex_numIfES1_PKPKS1_PKPS1_EviT1_lT2_llT3_lli,"axG",@progbits,_ZL22rocblas_saxpy_2_kernelILi256E19rocblas_complex_numIfES1_PKPKS1_PKPS1_EviT1_lT2_llT3_lli,comdat
	.globl	_ZL22rocblas_saxpy_2_kernelILi256E19rocblas_complex_numIfES1_PKPKS1_PKPS1_EviT1_lT2_llT3_lli ; -- Begin function _ZL22rocblas_saxpy_2_kernelILi256E19rocblas_complex_numIfES1_PKPKS1_PKPS1_EviT1_lT2_llT3_lli
	.p2align	8
	.type	_ZL22rocblas_saxpy_2_kernelILi256E19rocblas_complex_numIfES1_PKPKS1_PKPS1_EviT1_lT2_llT3_lli,@function
_ZL22rocblas_saxpy_2_kernelILi256E19rocblas_complex_numIfES1_PKPKS1_PKPS1_EviT1_lT2_llT3_lli: ; @_ZL22rocblas_saxpy_2_kernelILi256E19rocblas_complex_numIfES1_PKPKS1_PKPS1_EviT1_lT2_llT3_lli
; %bb.0:
	s_load_dwordx4 s[0:3], s[4:5], 0x0
	s_mov_b32 s9, 0
	s_waitcnt lgkmcnt(0)
	s_or_b32 s3, s1, s2
	s_bitset0_b32 s3, 31
	s_cmp_eq_u32 s3, 0
	s_cbranch_scc1 .LBB77_5
; %bb.1:
	s_load_dwordx4 s[12:15], s[4:5], 0x18
	s_load_dwordx4 s[16:19], s[4:5], 0x30
	s_mov_b32 s8, s7
	s_lshl_b64 s[4:5], s[8:9], 3
	v_lshlrev_b32_e32 v0, 1, v0
	s_waitcnt lgkmcnt(0)
	s_add_u32 s8, s12, s4
	s_addc_u32 s9, s13, s5
	s_load_dwordx2 s[8:9], s[8:9], 0x0
	s_lshl_b64 s[10:11], s[14:15], 3
	v_lshl_or_b32 v2, s6, 9, v0
	v_mov_b32_e32 v3, 0
	v_lshlrev_b64 v[0:1], 3, v[2:3]
	s_waitcnt lgkmcnt(0)
	s_add_u32 s3, s8, s10
	s_addc_u32 s8, s9, s11
	s_add_u32 s4, s16, s4
	s_addc_u32 s5, s17, s5
	s_load_dwordx2 s[4:5], s[4:5], 0x0
	s_lshl_b64 s[6:7], s[18:19], 3
	s_waitcnt lgkmcnt(0)
	s_add_u32 s9, s4, s6
	s_addc_u32 s10, s5, s7
	s_add_i32 s4, s0, -1
	s_ashr_i32 s5, s4, 31
	v_cmp_gt_i64_e32 vcc, s[4:5], v[2:3]
	s_and_saveexec_b64 s[6:7], vcc
	s_cbranch_execz .LBB77_3
; %bb.2:
	v_mov_b32_e32 v5, s8
	v_add_co_u32_e32 v8, vcc, s3, v0
	v_addc_co_u32_e32 v9, vcc, v5, v1, vcc
	v_mov_b32_e32 v4, s10
	flat_load_dwordx2 v[10:11], v[8:9]
	v_add_co_u32_e32 v12, vcc, s9, v0
	v_addc_co_u32_e32 v13, vcc, v4, v1, vcc
	flat_load_dwordx4 v[4:7], v[12:13]
	s_waitcnt vmcnt(0) lgkmcnt(0)
	v_mul_f32_e32 v14, s2, v11
	v_mul_f32_e32 v11, s1, v11
	v_fma_f32 v14, v10, s1, -v14
	v_fmac_f32_e32 v11, s2, v10
	v_add_f32_e32 v4, v14, v4
	v_add_f32_e32 v5, v11, v5
	flat_store_dwordx2 v[12:13], v[4:5]
	flat_load_dwordx2 v[4:5], v[8:9] offset:8
	s_waitcnt vmcnt(0) lgkmcnt(0)
	v_mul_f32_e32 v8, s2, v5
	v_mul_f32_e32 v5, s1, v5
	v_fma_f32 v8, v4, s1, -v8
	v_fmac_f32_e32 v5, s2, v4
	v_add_f32_e32 v4, v8, v6
	v_add_f32_e32 v5, v5, v7
	flat_store_dwordx2 v[12:13], v[4:5] offset:8
.LBB77_3:
	s_or_b64 exec, exec, s[6:7]
	s_bitcmp1_b32 s0, 0
	v_cmp_eq_u64_e32 vcc, s[4:5], v[2:3]
	s_cselect_b64 s[4:5], -1, 0
	s_and_b64 s[4:5], s[4:5], vcc
	s_and_saveexec_b64 s[6:7], s[4:5]
	s_cbranch_execz .LBB77_5
; %bb.4:
	v_mov_b32_e32 v3, s8
	v_add_co_u32_e32 v2, vcc, s3, v0
	v_addc_co_u32_e32 v3, vcc, v3, v1, vcc
	v_mov_b32_e32 v4, s10
	flat_load_dwordx2 v[2:3], v[2:3]
	v_add_co_u32_e32 v0, vcc, s9, v0
	v_addc_co_u32_e32 v1, vcc, v4, v1, vcc
	flat_load_dwordx2 v[4:5], v[0:1]
	s_waitcnt vmcnt(0) lgkmcnt(0)
	v_mul_f32_e32 v6, s2, v3
	v_mul_f32_e32 v3, s1, v3
	v_fma_f32 v6, v2, s1, -v6
	v_fmac_f32_e32 v3, s2, v2
	v_add_f32_e32 v2, v6, v4
	v_add_f32_e32 v3, v3, v5
	flat_store_dwordx2 v[0:1], v[2:3]
.LBB77_5:
	s_endpgm
	.section	.rodata,"a",@progbits
	.p2align	6, 0x0
	.amdhsa_kernel _ZL22rocblas_saxpy_2_kernelILi256E19rocblas_complex_numIfES1_PKPKS1_PKPS1_EviT1_lT2_llT3_lli
		.amdhsa_group_segment_fixed_size 0
		.amdhsa_private_segment_fixed_size 0
		.amdhsa_kernarg_size 76
		.amdhsa_user_sgpr_count 6
		.amdhsa_user_sgpr_private_segment_buffer 1
		.amdhsa_user_sgpr_dispatch_ptr 0
		.amdhsa_user_sgpr_queue_ptr 0
		.amdhsa_user_sgpr_kernarg_segment_ptr 1
		.amdhsa_user_sgpr_dispatch_id 0
		.amdhsa_user_sgpr_flat_scratch_init 0
		.amdhsa_user_sgpr_private_segment_size 0
		.amdhsa_uses_dynamic_stack 0
		.amdhsa_system_sgpr_private_segment_wavefront_offset 0
		.amdhsa_system_sgpr_workgroup_id_x 1
		.amdhsa_system_sgpr_workgroup_id_y 0
		.amdhsa_system_sgpr_workgroup_id_z 1
		.amdhsa_system_sgpr_workgroup_info 0
		.amdhsa_system_vgpr_workitem_id 0
		.amdhsa_next_free_vgpr 15
		.amdhsa_next_free_sgpr 20
		.amdhsa_reserve_vcc 1
		.amdhsa_reserve_flat_scratch 0
		.amdhsa_float_round_mode_32 0
		.amdhsa_float_round_mode_16_64 0
		.amdhsa_float_denorm_mode_32 3
		.amdhsa_float_denorm_mode_16_64 3
		.amdhsa_dx10_clamp 1
		.amdhsa_ieee_mode 1
		.amdhsa_fp16_overflow 0
		.amdhsa_exception_fp_ieee_invalid_op 0
		.amdhsa_exception_fp_denorm_src 0
		.amdhsa_exception_fp_ieee_div_zero 0
		.amdhsa_exception_fp_ieee_overflow 0
		.amdhsa_exception_fp_ieee_underflow 0
		.amdhsa_exception_fp_ieee_inexact 0
		.amdhsa_exception_int_div_zero 0
	.end_amdhsa_kernel
	.section	.text._ZL22rocblas_saxpy_2_kernelILi256E19rocblas_complex_numIfES1_PKPKS1_PKPS1_EviT1_lT2_llT3_lli,"axG",@progbits,_ZL22rocblas_saxpy_2_kernelILi256E19rocblas_complex_numIfES1_PKPKS1_PKPS1_EviT1_lT2_llT3_lli,comdat
.Lfunc_end77:
	.size	_ZL22rocblas_saxpy_2_kernelILi256E19rocblas_complex_numIfES1_PKPKS1_PKPS1_EviT1_lT2_llT3_lli, .Lfunc_end77-_ZL22rocblas_saxpy_2_kernelILi256E19rocblas_complex_numIfES1_PKPKS1_PKPS1_EviT1_lT2_llT3_lli
                                        ; -- End function
	.set _ZL22rocblas_saxpy_2_kernelILi256E19rocblas_complex_numIfES1_PKPKS1_PKPS1_EviT1_lT2_llT3_lli.num_vgpr, 15
	.set _ZL22rocblas_saxpy_2_kernelILi256E19rocblas_complex_numIfES1_PKPKS1_PKPS1_EviT1_lT2_llT3_lli.num_agpr, 0
	.set _ZL22rocblas_saxpy_2_kernelILi256E19rocblas_complex_numIfES1_PKPKS1_PKPS1_EviT1_lT2_llT3_lli.numbered_sgpr, 20
	.set _ZL22rocblas_saxpy_2_kernelILi256E19rocblas_complex_numIfES1_PKPKS1_PKPS1_EviT1_lT2_llT3_lli.num_named_barrier, 0
	.set _ZL22rocblas_saxpy_2_kernelILi256E19rocblas_complex_numIfES1_PKPKS1_PKPS1_EviT1_lT2_llT3_lli.private_seg_size, 0
	.set _ZL22rocblas_saxpy_2_kernelILi256E19rocblas_complex_numIfES1_PKPKS1_PKPS1_EviT1_lT2_llT3_lli.uses_vcc, 1
	.set _ZL22rocblas_saxpy_2_kernelILi256E19rocblas_complex_numIfES1_PKPKS1_PKPS1_EviT1_lT2_llT3_lli.uses_flat_scratch, 0
	.set _ZL22rocblas_saxpy_2_kernelILi256E19rocblas_complex_numIfES1_PKPKS1_PKPS1_EviT1_lT2_llT3_lli.has_dyn_sized_stack, 0
	.set _ZL22rocblas_saxpy_2_kernelILi256E19rocblas_complex_numIfES1_PKPKS1_PKPS1_EviT1_lT2_llT3_lli.has_recursion, 0
	.set _ZL22rocblas_saxpy_2_kernelILi256E19rocblas_complex_numIfES1_PKPKS1_PKPS1_EviT1_lT2_llT3_lli.has_indirect_call, 0
	.section	.AMDGPU.csdata,"",@progbits
; Kernel info:
; codeLenInByte = 408
; TotalNumSgprs: 24
; NumVgprs: 15
; ScratchSize: 0
; MemoryBound: 0
; FloatMode: 240
; IeeeMode: 1
; LDSByteSize: 0 bytes/workgroup (compile time only)
; SGPRBlocks: 2
; VGPRBlocks: 3
; NumSGPRsForWavesPerEU: 24
; NumVGPRsForWavesPerEU: 15
; Occupancy: 10
; WaveLimiterHint : 1
; COMPUTE_PGM_RSRC2:SCRATCH_EN: 0
; COMPUTE_PGM_RSRC2:USER_SGPR: 6
; COMPUTE_PGM_RSRC2:TRAP_HANDLER: 0
; COMPUTE_PGM_RSRC2:TGID_X_EN: 1
; COMPUTE_PGM_RSRC2:TGID_Y_EN: 0
; COMPUTE_PGM_RSRC2:TGID_Z_EN: 1
; COMPUTE_PGM_RSRC2:TIDIG_COMP_CNT: 0
	.section	.text._ZL27rocblas_axpy_kernel_batchedIiLi128ELi8E19rocblas_complex_numIfEPKS1_PKS3_PKPS1_EviT3_lT4_lT_lT5_lSB_li,"axG",@progbits,_ZL27rocblas_axpy_kernel_batchedIiLi128ELi8E19rocblas_complex_numIfEPKS1_PKS3_PKPS1_EviT3_lT4_lT_lT5_lSB_li,comdat
	.globl	_ZL27rocblas_axpy_kernel_batchedIiLi128ELi8E19rocblas_complex_numIfEPKS1_PKS3_PKPS1_EviT3_lT4_lT_lT5_lSB_li ; -- Begin function _ZL27rocblas_axpy_kernel_batchedIiLi128ELi8E19rocblas_complex_numIfEPKS1_PKS3_PKPS1_EviT3_lT4_lT_lT5_lSB_li
	.p2align	8
	.type	_ZL27rocblas_axpy_kernel_batchedIiLi128ELi8E19rocblas_complex_numIfEPKS1_PKS3_PKPS1_EviT3_lT4_lT_lT5_lSB_li,@function
_ZL27rocblas_axpy_kernel_batchedIiLi128ELi8E19rocblas_complex_numIfEPKS1_PKS3_PKPS1_EviT3_lT4_lT_lT5_lSB_li: ; @_ZL27rocblas_axpy_kernel_batchedIiLi128ELi8E19rocblas_complex_numIfEPKS1_PKS3_PKPS1_EviT3_lT4_lT_lT5_lSB_li
; %bb.0:
	s_load_dword s0, s[4:5], 0x0
	v_lshl_add_u32 v6, s6, 7, v0
	v_mov_b32_e32 v7, 0
	s_waitcnt lgkmcnt(0)
	s_ashr_i32 s1, s0, 31
	v_cmp_gt_i64_e32 vcc, s[0:1], v[6:7]
	s_and_saveexec_b64 s[0:1], vcc
	s_cbranch_execz .LBB78_13
; %bb.1:
	s_load_dword s16, s[4:5], 0x28
	s_load_dwordx8 s[8:15], s[4:5], 0x8
	s_load_dwordx4 s[0:3], s[4:5], 0x38
	s_load_dword s17, s[4:5], 0x48
	s_load_dword s6, s[4:5], 0x58
	s_waitcnt lgkmcnt(0)
	v_mad_u64_u32 v[2:3], s[4:5], s16, v6, 0
	s_ashr_i32 s18, s16, 31
	v_mad_u64_u32 v[4:5], s[4:5], s17, v6, 0
	v_mov_b32_e32 v0, v3
	s_ashr_i32 s16, s17, 31
	v_mad_u64_u32 v[7:8], s[4:5], s18, v6, v[0:1]
	v_mov_b32_e32 v0, v5
	v_mad_u64_u32 v[5:6], s[4:5], s16, v6, v[0:1]
	v_lshlrev_b32_e32 v0, 2, v1
	v_lshl_add_u32 v0, s7, 5, v0
	v_mov_b32_e32 v3, v7
	v_cmp_gt_u32_e32 vcc, s6, v0
	s_and_saveexec_b64 s[4:5], vcc
	s_cbranch_execz .LBB78_4
; %bb.2:
	v_mad_u64_u32 v[6:7], s[16:17], s10, v0, 0
	v_mov_b32_e32 v1, v7
	v_mad_u64_u32 v[7:8], s[16:17], s11, v0, v[1:2]
	v_mov_b32_e32 v1, s9
	v_lshlrev_b64 v[6:7], 3, v[6:7]
	v_add_co_u32_e32 v6, vcc, s8, v6
	v_addc_co_u32_e32 v7, vcc, v1, v7, vcc
	global_load_dwordx2 v[6:7], v[6:7], off
	s_waitcnt vmcnt(0)
	v_or_b32_e32 v1, v6, v7
	v_and_b32_e32 v1, 0x7fffffff, v1
	v_cmp_ne_u32_e32 vcc, 0, v1
	s_and_b64 exec, exec, vcc
	s_cbranch_execz .LBB78_4
; %bb.3:
	v_mov_b32_e32 v1, 0
	v_lshlrev_b64 v[8:9], 3, v[0:1]
	v_mov_b32_e32 v1, s13
	v_add_co_u32_e32 v10, vcc, s12, v8
	v_addc_co_u32_e32 v11, vcc, v1, v9, vcc
	global_load_dwordx2 v[10:11], v[10:11], off
	v_mov_b32_e32 v1, s1
	v_add_co_u32_e32 v8, vcc, s0, v8
	v_addc_co_u32_e32 v9, vcc, v1, v9, vcc
	global_load_dwordx2 v[8:9], v[8:9], off
	s_lshl_b64 s[16:17], s[14:15], 3
	v_mov_b32_e32 v1, s17
	s_lshl_b64 s[18:19], s[2:3], 3
	v_lshlrev_b64 v[12:13], 3, v[2:3]
	v_mov_b32_e32 v16, s19
	v_lshlrev_b64 v[14:15], 3, v[4:5]
	s_waitcnt vmcnt(1)
	v_add_co_u32_e32 v10, vcc, s16, v10
	v_addc_co_u32_e32 v1, vcc, v11, v1, vcc
	s_waitcnt vmcnt(0)
	v_add_co_u32_e32 v11, vcc, s18, v8
	v_addc_co_u32_e32 v16, vcc, v9, v16, vcc
	v_add_co_u32_e32 v8, vcc, v10, v12
	v_addc_co_u32_e32 v9, vcc, v1, v13, vcc
	flat_load_dwordx2 v[8:9], v[8:9]
	v_add_co_u32_e32 v10, vcc, v11, v14
	v_addc_co_u32_e32 v11, vcc, v16, v15, vcc
	flat_load_dwordx2 v[12:13], v[10:11]
	s_waitcnt vmcnt(0) lgkmcnt(0)
	v_mul_f32_e32 v1, v9, v7
	v_mul_f32_e32 v9, v9, v6
	v_fma_f32 v1, v8, v6, -v1
	v_fmac_f32_e32 v9, v8, v7
	v_add_f32_e32 v6, v1, v12
	v_add_f32_e32 v7, v9, v13
	flat_store_dwordx2 v[10:11], v[6:7]
.LBB78_4:
	s_or_b64 exec, exec, s[4:5]
	v_or_b32_e32 v1, 1, v0
	v_cmp_gt_u32_e32 vcc, s6, v1
	s_and_saveexec_b64 s[4:5], vcc
	s_cbranch_execz .LBB78_7
; %bb.5:
	v_mad_u64_u32 v[6:7], s[16:17], s10, v1, 0
	v_mad_u64_u32 v[7:8], s[16:17], s11, v1, v[7:8]
	v_mov_b32_e32 v1, s9
	v_lshlrev_b64 v[6:7], 3, v[6:7]
	v_add_co_u32_e32 v6, vcc, s8, v6
	v_addc_co_u32_e32 v7, vcc, v1, v7, vcc
	global_load_dwordx2 v[6:7], v[6:7], off
	s_waitcnt vmcnt(0)
	v_or_b32_e32 v1, v6, v7
	v_and_b32_e32 v1, 0x7fffffff, v1
	v_cmp_ne_u32_e32 vcc, 0, v1
	s_and_b64 exec, exec, vcc
	s_cbranch_execz .LBB78_7
; %bb.6:
	v_mov_b32_e32 v1, 0
	v_lshlrev_b64 v[8:9], 3, v[0:1]
	v_mov_b32_e32 v1, s13
	v_add_co_u32_e32 v10, vcc, s12, v8
	v_addc_co_u32_e32 v11, vcc, v1, v9, vcc
	global_load_dwordx2 v[10:11], v[10:11], off offset:8
	v_mov_b32_e32 v1, s1
	v_add_co_u32_e32 v8, vcc, s0, v8
	v_addc_co_u32_e32 v9, vcc, v1, v9, vcc
	global_load_dwordx2 v[8:9], v[8:9], off offset:8
	s_lshl_b64 s[16:17], s[14:15], 3
	v_mov_b32_e32 v1, s17
	s_lshl_b64 s[18:19], s[2:3], 3
	v_lshlrev_b64 v[12:13], 3, v[2:3]
	v_mov_b32_e32 v16, s19
	v_lshlrev_b64 v[14:15], 3, v[4:5]
	s_waitcnt vmcnt(0)
	v_add_co_u32_e32 v10, vcc, s16, v10
	v_addc_co_u32_e32 v1, vcc, v11, v1, vcc
	v_add_co_u32_e32 v11, vcc, s18, v8
	v_addc_co_u32_e32 v16, vcc, v9, v16, vcc
	;; [unrolled: 2-line block ×3, first 2 shown]
	flat_load_dwordx2 v[8:9], v[8:9]
	v_add_co_u32_e32 v10, vcc, v11, v14
	v_addc_co_u32_e32 v11, vcc, v16, v15, vcc
	flat_load_dwordx2 v[12:13], v[10:11]
	s_waitcnt vmcnt(0) lgkmcnt(0)
	v_mul_f32_e32 v1, v9, v7
	v_mul_f32_e32 v9, v9, v6
	v_fma_f32 v1, v8, v6, -v1
	v_fmac_f32_e32 v9, v8, v7
	v_add_f32_e32 v6, v1, v12
	v_add_f32_e32 v7, v9, v13
	flat_store_dwordx2 v[10:11], v[6:7]
.LBB78_7:
	s_or_b64 exec, exec, s[4:5]
	v_or_b32_e32 v1, 2, v0
	v_cmp_gt_u32_e32 vcc, s6, v1
	s_and_saveexec_b64 s[4:5], vcc
	s_cbranch_execz .LBB78_10
; %bb.8:
	v_mad_u64_u32 v[6:7], s[16:17], s10, v1, 0
	v_mad_u64_u32 v[7:8], s[16:17], s11, v1, v[7:8]
	v_mov_b32_e32 v1, s9
	v_lshlrev_b64 v[6:7], 3, v[6:7]
	v_add_co_u32_e32 v6, vcc, s8, v6
	v_addc_co_u32_e32 v7, vcc, v1, v7, vcc
	global_load_dwordx2 v[6:7], v[6:7], off
	s_waitcnt vmcnt(0)
	v_or_b32_e32 v1, v6, v7
	v_and_b32_e32 v1, 0x7fffffff, v1
	v_cmp_ne_u32_e32 vcc, 0, v1
	s_and_b64 exec, exec, vcc
	s_cbranch_execz .LBB78_10
; %bb.9:
	v_mov_b32_e32 v1, 0
	v_lshlrev_b64 v[8:9], 3, v[0:1]
	v_mov_b32_e32 v1, s13
	v_add_co_u32_e32 v10, vcc, s12, v8
	v_addc_co_u32_e32 v11, vcc, v1, v9, vcc
	global_load_dwordx2 v[10:11], v[10:11], off offset:16
	v_mov_b32_e32 v1, s1
	v_add_co_u32_e32 v8, vcc, s0, v8
	v_addc_co_u32_e32 v9, vcc, v1, v9, vcc
	global_load_dwordx2 v[8:9], v[8:9], off offset:16
	s_lshl_b64 s[16:17], s[14:15], 3
	v_mov_b32_e32 v1, s17
	s_lshl_b64 s[18:19], s[2:3], 3
	v_lshlrev_b64 v[12:13], 3, v[2:3]
	v_mov_b32_e32 v16, s19
	v_lshlrev_b64 v[14:15], 3, v[4:5]
	s_waitcnt vmcnt(0)
	v_add_co_u32_e32 v10, vcc, s16, v10
	v_addc_co_u32_e32 v1, vcc, v11, v1, vcc
	v_add_co_u32_e32 v11, vcc, s18, v8
	v_addc_co_u32_e32 v16, vcc, v9, v16, vcc
	;; [unrolled: 2-line block ×3, first 2 shown]
	flat_load_dwordx2 v[8:9], v[8:9]
	v_add_co_u32_e32 v10, vcc, v11, v14
	v_addc_co_u32_e32 v11, vcc, v16, v15, vcc
	flat_load_dwordx2 v[12:13], v[10:11]
	s_waitcnt vmcnt(0) lgkmcnt(0)
	v_mul_f32_e32 v1, v9, v7
	v_mul_f32_e32 v9, v9, v6
	v_fma_f32 v1, v8, v6, -v1
	v_fmac_f32_e32 v9, v8, v7
	v_add_f32_e32 v6, v1, v12
	v_add_f32_e32 v7, v9, v13
	flat_store_dwordx2 v[10:11], v[6:7]
.LBB78_10:
	s_or_b64 exec, exec, s[4:5]
	v_or_b32_e32 v1, 3, v0
	v_cmp_gt_u32_e32 vcc, s6, v1
	s_and_b64 exec, exec, vcc
	s_cbranch_execz .LBB78_13
; %bb.11:
	v_mad_u64_u32 v[6:7], s[4:5], s10, v1, 0
	v_mad_u64_u32 v[7:8], s[4:5], s11, v1, v[7:8]
	v_mov_b32_e32 v1, s9
	v_lshlrev_b64 v[6:7], 3, v[6:7]
	v_add_co_u32_e32 v6, vcc, s8, v6
	v_addc_co_u32_e32 v7, vcc, v1, v7, vcc
	global_load_dwordx2 v[6:7], v[6:7], off
	s_waitcnt vmcnt(0)
	v_or_b32_e32 v1, v6, v7
	v_and_b32_e32 v1, 0x7fffffff, v1
	v_cmp_ne_u32_e32 vcc, 0, v1
	s_and_b64 exec, exec, vcc
	s_cbranch_execz .LBB78_13
; %bb.12:
	v_mov_b32_e32 v1, 0
	v_lshlrev_b64 v[0:1], 3, v[0:1]
	v_mov_b32_e32 v9, s13
	v_add_co_u32_e32 v8, vcc, s12, v0
	v_addc_co_u32_e32 v9, vcc, v9, v1, vcc
	global_load_dwordx2 v[8:9], v[8:9], off offset:24
	v_mov_b32_e32 v10, s1
	v_add_co_u32_e32 v0, vcc, s0, v0
	v_addc_co_u32_e32 v1, vcc, v10, v1, vcc
	global_load_dwordx2 v[0:1], v[0:1], off offset:24
	s_lshl_b64 s[0:1], s[14:15], 3
	v_mov_b32_e32 v10, s1
	s_lshl_b64 s[2:3], s[2:3], 3
	v_lshlrev_b64 v[2:3], 3, v[2:3]
	v_mov_b32_e32 v11, s3
	v_lshlrev_b64 v[4:5], 3, v[4:5]
	s_waitcnt vmcnt(0)
	v_add_co_u32_e32 v8, vcc, s0, v8
	v_addc_co_u32_e32 v9, vcc, v9, v10, vcc
	v_add_co_u32_e32 v10, vcc, s2, v0
	v_addc_co_u32_e32 v11, vcc, v1, v11, vcc
	;; [unrolled: 2-line block ×3, first 2 shown]
	flat_load_dwordx2 v[0:1], v[0:1]
	v_add_co_u32_e32 v2, vcc, v10, v4
	v_addc_co_u32_e32 v3, vcc, v11, v5, vcc
	flat_load_dwordx2 v[4:5], v[2:3]
	s_waitcnt vmcnt(0) lgkmcnt(0)
	v_mul_f32_e32 v8, v1, v7
	v_mul_f32_e32 v1, v1, v6
	v_fma_f32 v6, v0, v6, -v8
	v_fmac_f32_e32 v1, v0, v7
	v_add_f32_e32 v0, v6, v4
	v_add_f32_e32 v1, v1, v5
	flat_store_dwordx2 v[2:3], v[0:1]
.LBB78_13:
	s_endpgm
	.section	.rodata,"a",@progbits
	.p2align	6, 0x0
	.amdhsa_kernel _ZL27rocblas_axpy_kernel_batchedIiLi128ELi8E19rocblas_complex_numIfEPKS1_PKS3_PKPS1_EviT3_lT4_lT_lT5_lSB_li
		.amdhsa_group_segment_fixed_size 0
		.amdhsa_private_segment_fixed_size 0
		.amdhsa_kernarg_size 92
		.amdhsa_user_sgpr_count 6
		.amdhsa_user_sgpr_private_segment_buffer 1
		.amdhsa_user_sgpr_dispatch_ptr 0
		.amdhsa_user_sgpr_queue_ptr 0
		.amdhsa_user_sgpr_kernarg_segment_ptr 1
		.amdhsa_user_sgpr_dispatch_id 0
		.amdhsa_user_sgpr_flat_scratch_init 0
		.amdhsa_user_sgpr_private_segment_size 0
		.amdhsa_uses_dynamic_stack 0
		.amdhsa_system_sgpr_private_segment_wavefront_offset 0
		.amdhsa_system_sgpr_workgroup_id_x 1
		.amdhsa_system_sgpr_workgroup_id_y 0
		.amdhsa_system_sgpr_workgroup_id_z 1
		.amdhsa_system_sgpr_workgroup_info 0
		.amdhsa_system_vgpr_workitem_id 1
		.amdhsa_next_free_vgpr 17
		.amdhsa_next_free_sgpr 20
		.amdhsa_reserve_vcc 1
		.amdhsa_reserve_flat_scratch 0
		.amdhsa_float_round_mode_32 0
		.amdhsa_float_round_mode_16_64 0
		.amdhsa_float_denorm_mode_32 3
		.amdhsa_float_denorm_mode_16_64 3
		.amdhsa_dx10_clamp 1
		.amdhsa_ieee_mode 1
		.amdhsa_fp16_overflow 0
		.amdhsa_exception_fp_ieee_invalid_op 0
		.amdhsa_exception_fp_denorm_src 0
		.amdhsa_exception_fp_ieee_div_zero 0
		.amdhsa_exception_fp_ieee_overflow 0
		.amdhsa_exception_fp_ieee_underflow 0
		.amdhsa_exception_fp_ieee_inexact 0
		.amdhsa_exception_int_div_zero 0
	.end_amdhsa_kernel
	.section	.text._ZL27rocblas_axpy_kernel_batchedIiLi128ELi8E19rocblas_complex_numIfEPKS1_PKS3_PKPS1_EviT3_lT4_lT_lT5_lSB_li,"axG",@progbits,_ZL27rocblas_axpy_kernel_batchedIiLi128ELi8E19rocblas_complex_numIfEPKS1_PKS3_PKPS1_EviT3_lT4_lT_lT5_lSB_li,comdat
.Lfunc_end78:
	.size	_ZL27rocblas_axpy_kernel_batchedIiLi128ELi8E19rocblas_complex_numIfEPKS1_PKS3_PKPS1_EviT3_lT4_lT_lT5_lSB_li, .Lfunc_end78-_ZL27rocblas_axpy_kernel_batchedIiLi128ELi8E19rocblas_complex_numIfEPKS1_PKS3_PKPS1_EviT3_lT4_lT_lT5_lSB_li
                                        ; -- End function
	.set _ZL27rocblas_axpy_kernel_batchedIiLi128ELi8E19rocblas_complex_numIfEPKS1_PKS3_PKPS1_EviT3_lT4_lT_lT5_lSB_li.num_vgpr, 17
	.set _ZL27rocblas_axpy_kernel_batchedIiLi128ELi8E19rocblas_complex_numIfEPKS1_PKS3_PKPS1_EviT3_lT4_lT_lT5_lSB_li.num_agpr, 0
	.set _ZL27rocblas_axpy_kernel_batchedIiLi128ELi8E19rocblas_complex_numIfEPKS1_PKS3_PKPS1_EviT3_lT4_lT_lT5_lSB_li.numbered_sgpr, 20
	.set _ZL27rocblas_axpy_kernel_batchedIiLi128ELi8E19rocblas_complex_numIfEPKS1_PKS3_PKPS1_EviT3_lT4_lT_lT5_lSB_li.num_named_barrier, 0
	.set _ZL27rocblas_axpy_kernel_batchedIiLi128ELi8E19rocblas_complex_numIfEPKS1_PKS3_PKPS1_EviT3_lT4_lT_lT5_lSB_li.private_seg_size, 0
	.set _ZL27rocblas_axpy_kernel_batchedIiLi128ELi8E19rocblas_complex_numIfEPKS1_PKS3_PKPS1_EviT3_lT4_lT_lT5_lSB_li.uses_vcc, 1
	.set _ZL27rocblas_axpy_kernel_batchedIiLi128ELi8E19rocblas_complex_numIfEPKS1_PKS3_PKPS1_EviT3_lT4_lT_lT5_lSB_li.uses_flat_scratch, 0
	.set _ZL27rocblas_axpy_kernel_batchedIiLi128ELi8E19rocblas_complex_numIfEPKS1_PKS3_PKPS1_EviT3_lT4_lT_lT5_lSB_li.has_dyn_sized_stack, 0
	.set _ZL27rocblas_axpy_kernel_batchedIiLi128ELi8E19rocblas_complex_numIfEPKS1_PKS3_PKPS1_EviT3_lT4_lT_lT5_lSB_li.has_recursion, 0
	.set _ZL27rocblas_axpy_kernel_batchedIiLi128ELi8E19rocblas_complex_numIfEPKS1_PKS3_PKPS1_EviT3_lT4_lT_lT5_lSB_li.has_indirect_call, 0
	.section	.AMDGPU.csdata,"",@progbits
; Kernel info:
; codeLenInByte = 1224
; TotalNumSgprs: 24
; NumVgprs: 17
; ScratchSize: 0
; MemoryBound: 0
; FloatMode: 240
; IeeeMode: 1
; LDSByteSize: 0 bytes/workgroup (compile time only)
; SGPRBlocks: 2
; VGPRBlocks: 4
; NumSGPRsForWavesPerEU: 24
; NumVGPRsForWavesPerEU: 17
; Occupancy: 10
; WaveLimiterHint : 1
; COMPUTE_PGM_RSRC2:SCRATCH_EN: 0
; COMPUTE_PGM_RSRC2:USER_SGPR: 6
; COMPUTE_PGM_RSRC2:TRAP_HANDLER: 0
; COMPUTE_PGM_RSRC2:TGID_X_EN: 1
; COMPUTE_PGM_RSRC2:TGID_Y_EN: 0
; COMPUTE_PGM_RSRC2:TGID_Z_EN: 1
; COMPUTE_PGM_RSRC2:TIDIG_COMP_CNT: 1
	.section	.text._ZL27rocblas_axpy_kernel_batchedIiLi128ELi8E19rocblas_complex_numIfES1_PKPKS1_PKPS1_EviT3_lT4_lT_lT5_lSB_li,"axG",@progbits,_ZL27rocblas_axpy_kernel_batchedIiLi128ELi8E19rocblas_complex_numIfES1_PKPKS1_PKPS1_EviT3_lT4_lT_lT5_lSB_li,comdat
	.globl	_ZL27rocblas_axpy_kernel_batchedIiLi128ELi8E19rocblas_complex_numIfES1_PKPKS1_PKPS1_EviT3_lT4_lT_lT5_lSB_li ; -- Begin function _ZL27rocblas_axpy_kernel_batchedIiLi128ELi8E19rocblas_complex_numIfES1_PKPKS1_PKPS1_EviT3_lT4_lT_lT5_lSB_li
	.p2align	8
	.type	_ZL27rocblas_axpy_kernel_batchedIiLi128ELi8E19rocblas_complex_numIfES1_PKPKS1_PKPS1_EviT3_lT4_lT_lT5_lSB_li,@function
_ZL27rocblas_axpy_kernel_batchedIiLi128ELi8E19rocblas_complex_numIfES1_PKPKS1_PKPS1_EviT3_lT4_lT_lT5_lSB_li: ; @_ZL27rocblas_axpy_kernel_batchedIiLi128ELi8E19rocblas_complex_numIfES1_PKPKS1_PKPS1_EviT3_lT4_lT_lT5_lSB_li
; %bb.0:
	s_load_dword s0, s[4:5], 0x0
	v_lshl_add_u32 v2, s6, 7, v0
	v_mov_b32_e32 v3, 0
	s_waitcnt lgkmcnt(0)
	s_ashr_i32 s1, s0, 31
	v_cmp_gt_i64_e32 vcc, s[0:1], v[2:3]
	s_and_saveexec_b64 s[0:1], vcc
	s_cbranch_execz .LBB79_9
; %bb.1:
	s_load_dword s6, s[4:5], 0x28
	s_load_dwordx2 s[12:13], s[4:5], 0x4
	s_load_dwordx4 s[0:3], s[4:5], 0x18
	s_load_dwordx4 s[8:11], s[4:5], 0x38
	s_load_dword s15, s[4:5], 0x48
	s_load_dword s14, s[4:5], 0x58
	s_waitcnt lgkmcnt(0)
	v_mad_u64_u32 v[5:6], s[4:5], s6, v2, 0
	s_ashr_i32 s16, s6, 31
	v_mad_u64_u32 v[7:8], s[4:5], s15, v2, 0
	v_mov_b32_e32 v0, v6
	s_ashr_i32 s6, s15, 31
	v_mad_u64_u32 v[3:4], s[4:5], s16, v2, v[0:1]
	v_mov_b32_e32 v0, v8
	v_mad_u64_u32 v[8:9], s[4:5], s6, v2, v[0:1]
	s_or_b32 s4, s12, s13
	s_and_b32 s6, s4, 0x7fffffff
	v_lshlrev_b32_e32 v0, 2, v1
	s_cmp_eq_u32 s6, 0
	v_lshl_add_u32 v4, s7, 5, v0
	v_mov_b32_e32 v6, v3
	s_cselect_b64 s[4:5], -1, 0
	s_cmp_lg_u32 s6, 0
	s_cselect_b64 s[6:7], -1, 0
	v_cmp_gt_u32_e32 vcc, s14, v4
	v_lshlrev_b64 v[2:3], 3, v[5:6]
	v_lshlrev_b64 v[0:1], 3, v[7:8]
	s_and_b64 s[16:17], vcc, s[6:7]
	s_and_saveexec_b64 s[6:7], s[16:17]
	s_cbranch_execz .LBB79_3
; %bb.2:
	v_mov_b32_e32 v5, 0
	v_lshlrev_b64 v[5:6], 3, v[4:5]
	v_mov_b32_e32 v8, s1
	v_add_co_u32_e32 v7, vcc, s0, v5
	v_addc_co_u32_e32 v8, vcc, v8, v6, vcc
	global_load_dwordx2 v[7:8], v[7:8], off
	v_mov_b32_e32 v9, s9
	v_add_co_u32_e32 v5, vcc, s8, v5
	v_addc_co_u32_e32 v6, vcc, v9, v6, vcc
	global_load_dwordx2 v[5:6], v[5:6], off
	s_lshl_b64 s[16:17], s[2:3], 3
	v_mov_b32_e32 v9, s17
	s_lshl_b64 s[18:19], s[10:11], 3
	v_mov_b32_e32 v10, s19
	s_waitcnt vmcnt(1)
	v_add_co_u32_e32 v7, vcc, s16, v7
	v_addc_co_u32_e32 v8, vcc, v8, v9, vcc
	s_waitcnt vmcnt(0)
	v_add_co_u32_e32 v9, vcc, s18, v5
	v_addc_co_u32_e32 v10, vcc, v6, v10, vcc
	v_add_co_u32_e32 v5, vcc, v7, v2
	v_addc_co_u32_e32 v6, vcc, v8, v3, vcc
	flat_load_dwordx2 v[5:6], v[5:6]
	v_add_co_u32_e32 v7, vcc, v9, v0
	v_addc_co_u32_e32 v8, vcc, v10, v1, vcc
	flat_load_dwordx2 v[9:10], v[7:8]
	s_waitcnt vmcnt(0) lgkmcnt(0)
	v_mul_f32_e32 v11, s13, v6
	v_mul_f32_e32 v6, s12, v6
	v_fma_f32 v11, v5, s12, -v11
	v_fmac_f32_e32 v6, s13, v5
	v_add_f32_e32 v5, v11, v9
	v_add_f32_e32 v6, v6, v10
	flat_store_dwordx2 v[7:8], v[5:6]
.LBB79_3:
	s_or_b64 exec, exec, s[6:7]
	v_or_b32_e32 v5, 1, v4
	v_cmp_gt_u32_e32 vcc, s14, v5
	s_xor_b64 s[4:5], s[4:5], -1
	s_and_b64 s[16:17], vcc, s[4:5]
	s_and_saveexec_b64 s[6:7], s[16:17]
	s_cbranch_execz .LBB79_5
; %bb.4:
	v_mov_b32_e32 v5, 0
	v_lshlrev_b64 v[5:6], 3, v[4:5]
	v_mov_b32_e32 v8, s1
	v_add_co_u32_e32 v7, vcc, s0, v5
	v_addc_co_u32_e32 v8, vcc, v8, v6, vcc
	global_load_dwordx2 v[7:8], v[7:8], off offset:8
	v_mov_b32_e32 v9, s9
	v_add_co_u32_e32 v5, vcc, s8, v5
	v_addc_co_u32_e32 v6, vcc, v9, v6, vcc
	global_load_dwordx2 v[5:6], v[5:6], off offset:8
	s_lshl_b64 s[16:17], s[2:3], 3
	v_mov_b32_e32 v9, s17
	s_lshl_b64 s[18:19], s[10:11], 3
	v_mov_b32_e32 v10, s19
	s_waitcnt vmcnt(0)
	v_add_co_u32_e32 v7, vcc, s16, v7
	v_addc_co_u32_e32 v8, vcc, v8, v9, vcc
	v_add_co_u32_e32 v9, vcc, s18, v5
	v_addc_co_u32_e32 v10, vcc, v6, v10, vcc
	;; [unrolled: 2-line block ×3, first 2 shown]
	flat_load_dwordx2 v[5:6], v[5:6]
	v_add_co_u32_e32 v7, vcc, v9, v0
	v_addc_co_u32_e32 v8, vcc, v10, v1, vcc
	flat_load_dwordx2 v[9:10], v[7:8]
	s_waitcnt vmcnt(0) lgkmcnt(0)
	v_mul_f32_e32 v11, s13, v6
	v_mul_f32_e32 v6, s12, v6
	v_fma_f32 v11, v5, s12, -v11
	v_fmac_f32_e32 v6, s13, v5
	v_add_f32_e32 v5, v11, v9
	v_add_f32_e32 v6, v6, v10
	flat_store_dwordx2 v[7:8], v[5:6]
.LBB79_5:
	s_or_b64 exec, exec, s[6:7]
	v_or_b32_e32 v5, 2, v4
	v_cmp_gt_u32_e32 vcc, s14, v5
	s_and_b64 s[16:17], vcc, s[4:5]
	s_and_saveexec_b64 s[6:7], s[16:17]
	s_cbranch_execz .LBB79_7
; %bb.6:
	v_mov_b32_e32 v5, 0
	v_lshlrev_b64 v[5:6], 3, v[4:5]
	v_mov_b32_e32 v8, s1
	v_add_co_u32_e32 v7, vcc, s0, v5
	v_addc_co_u32_e32 v8, vcc, v8, v6, vcc
	global_load_dwordx2 v[7:8], v[7:8], off offset:16
	v_mov_b32_e32 v9, s9
	v_add_co_u32_e32 v5, vcc, s8, v5
	v_addc_co_u32_e32 v6, vcc, v9, v6, vcc
	global_load_dwordx2 v[5:6], v[5:6], off offset:16
	s_lshl_b64 s[16:17], s[2:3], 3
	v_mov_b32_e32 v9, s17
	s_lshl_b64 s[18:19], s[10:11], 3
	v_mov_b32_e32 v10, s19
	s_waitcnt vmcnt(0)
	v_add_co_u32_e32 v7, vcc, s16, v7
	v_addc_co_u32_e32 v8, vcc, v8, v9, vcc
	v_add_co_u32_e32 v9, vcc, s18, v5
	v_addc_co_u32_e32 v10, vcc, v6, v10, vcc
	;; [unrolled: 2-line block ×3, first 2 shown]
	flat_load_dwordx2 v[5:6], v[5:6]
	v_add_co_u32_e32 v7, vcc, v9, v0
	v_addc_co_u32_e32 v8, vcc, v10, v1, vcc
	flat_load_dwordx2 v[9:10], v[7:8]
	s_waitcnt vmcnt(0) lgkmcnt(0)
	v_mul_f32_e32 v11, s13, v6
	v_mul_f32_e32 v6, s12, v6
	v_fma_f32 v11, v5, s12, -v11
	v_fmac_f32_e32 v6, s13, v5
	v_add_f32_e32 v5, v11, v9
	v_add_f32_e32 v6, v6, v10
	flat_store_dwordx2 v[7:8], v[5:6]
.LBB79_7:
	s_or_b64 exec, exec, s[6:7]
	v_or_b32_e32 v5, 3, v4
	v_cmp_gt_u32_e32 vcc, s14, v5
	s_and_b64 s[4:5], vcc, s[4:5]
	s_and_b64 exec, exec, s[4:5]
	s_cbranch_execz .LBB79_9
; %bb.8:
	v_mov_b32_e32 v5, 0
	v_lshlrev_b64 v[4:5], 3, v[4:5]
	v_mov_b32_e32 v7, s1
	v_add_co_u32_e32 v6, vcc, s0, v4
	v_addc_co_u32_e32 v7, vcc, v7, v5, vcc
	global_load_dwordx2 v[6:7], v[6:7], off offset:24
	v_mov_b32_e32 v8, s9
	v_add_co_u32_e32 v4, vcc, s8, v4
	v_addc_co_u32_e32 v5, vcc, v8, v5, vcc
	global_load_dwordx2 v[4:5], v[4:5], off offset:24
	s_lshl_b64 s[0:1], s[2:3], 3
	v_mov_b32_e32 v8, s1
	s_lshl_b64 s[2:3], s[10:11], 3
	v_mov_b32_e32 v9, s3
	s_waitcnt vmcnt(0)
	v_add_co_u32_e32 v6, vcc, s0, v6
	v_addc_co_u32_e32 v7, vcc, v7, v8, vcc
	v_add_co_u32_e32 v4, vcc, s2, v4
	v_addc_co_u32_e32 v5, vcc, v5, v9, vcc
	;; [unrolled: 2-line block ×3, first 2 shown]
	flat_load_dwordx2 v[2:3], v[2:3]
	v_add_co_u32_e32 v0, vcc, v4, v0
	v_addc_co_u32_e32 v1, vcc, v5, v1, vcc
	flat_load_dwordx2 v[4:5], v[0:1]
	s_waitcnt vmcnt(0) lgkmcnt(0)
	v_mul_f32_e32 v6, s13, v3
	v_mul_f32_e32 v3, s12, v3
	v_fma_f32 v6, v2, s12, -v6
	v_fmac_f32_e32 v3, s13, v2
	v_add_f32_e32 v2, v6, v4
	v_add_f32_e32 v3, v3, v5
	flat_store_dwordx2 v[0:1], v[2:3]
.LBB79_9:
	s_endpgm
	.section	.rodata,"a",@progbits
	.p2align	6, 0x0
	.amdhsa_kernel _ZL27rocblas_axpy_kernel_batchedIiLi128ELi8E19rocblas_complex_numIfES1_PKPKS1_PKPS1_EviT3_lT4_lT_lT5_lSB_li
		.amdhsa_group_segment_fixed_size 0
		.amdhsa_private_segment_fixed_size 0
		.amdhsa_kernarg_size 92
		.amdhsa_user_sgpr_count 6
		.amdhsa_user_sgpr_private_segment_buffer 1
		.amdhsa_user_sgpr_dispatch_ptr 0
		.amdhsa_user_sgpr_queue_ptr 0
		.amdhsa_user_sgpr_kernarg_segment_ptr 1
		.amdhsa_user_sgpr_dispatch_id 0
		.amdhsa_user_sgpr_flat_scratch_init 0
		.amdhsa_user_sgpr_private_segment_size 0
		.amdhsa_uses_dynamic_stack 0
		.amdhsa_system_sgpr_private_segment_wavefront_offset 0
		.amdhsa_system_sgpr_workgroup_id_x 1
		.amdhsa_system_sgpr_workgroup_id_y 0
		.amdhsa_system_sgpr_workgroup_id_z 1
		.amdhsa_system_sgpr_workgroup_info 0
		.amdhsa_system_vgpr_workitem_id 1
		.amdhsa_next_free_vgpr 12
		.amdhsa_next_free_sgpr 20
		.amdhsa_reserve_vcc 1
		.amdhsa_reserve_flat_scratch 0
		.amdhsa_float_round_mode_32 0
		.amdhsa_float_round_mode_16_64 0
		.amdhsa_float_denorm_mode_32 3
		.amdhsa_float_denorm_mode_16_64 3
		.amdhsa_dx10_clamp 1
		.amdhsa_ieee_mode 1
		.amdhsa_fp16_overflow 0
		.amdhsa_exception_fp_ieee_invalid_op 0
		.amdhsa_exception_fp_denorm_src 0
		.amdhsa_exception_fp_ieee_div_zero 0
		.amdhsa_exception_fp_ieee_overflow 0
		.amdhsa_exception_fp_ieee_underflow 0
		.amdhsa_exception_fp_ieee_inexact 0
		.amdhsa_exception_int_div_zero 0
	.end_amdhsa_kernel
	.section	.text._ZL27rocblas_axpy_kernel_batchedIiLi128ELi8E19rocblas_complex_numIfES1_PKPKS1_PKPS1_EviT3_lT4_lT_lT5_lSB_li,"axG",@progbits,_ZL27rocblas_axpy_kernel_batchedIiLi128ELi8E19rocblas_complex_numIfES1_PKPKS1_PKPS1_EviT3_lT4_lT_lT5_lSB_li,comdat
.Lfunc_end79:
	.size	_ZL27rocblas_axpy_kernel_batchedIiLi128ELi8E19rocblas_complex_numIfES1_PKPKS1_PKPS1_EviT3_lT4_lT_lT5_lSB_li, .Lfunc_end79-_ZL27rocblas_axpy_kernel_batchedIiLi128ELi8E19rocblas_complex_numIfES1_PKPKS1_PKPS1_EviT3_lT4_lT_lT5_lSB_li
                                        ; -- End function
	.set _ZL27rocblas_axpy_kernel_batchedIiLi128ELi8E19rocblas_complex_numIfES1_PKPKS1_PKPS1_EviT3_lT4_lT_lT5_lSB_li.num_vgpr, 12
	.set _ZL27rocblas_axpy_kernel_batchedIiLi128ELi8E19rocblas_complex_numIfES1_PKPKS1_PKPS1_EviT3_lT4_lT_lT5_lSB_li.num_agpr, 0
	.set _ZL27rocblas_axpy_kernel_batchedIiLi128ELi8E19rocblas_complex_numIfES1_PKPKS1_PKPS1_EviT3_lT4_lT_lT5_lSB_li.numbered_sgpr, 20
	.set _ZL27rocblas_axpy_kernel_batchedIiLi128ELi8E19rocblas_complex_numIfES1_PKPKS1_PKPS1_EviT3_lT4_lT_lT5_lSB_li.num_named_barrier, 0
	.set _ZL27rocblas_axpy_kernel_batchedIiLi128ELi8E19rocblas_complex_numIfES1_PKPKS1_PKPS1_EviT3_lT4_lT_lT5_lSB_li.private_seg_size, 0
	.set _ZL27rocblas_axpy_kernel_batchedIiLi128ELi8E19rocblas_complex_numIfES1_PKPKS1_PKPS1_EviT3_lT4_lT_lT5_lSB_li.uses_vcc, 1
	.set _ZL27rocblas_axpy_kernel_batchedIiLi128ELi8E19rocblas_complex_numIfES1_PKPKS1_PKPS1_EviT3_lT4_lT_lT5_lSB_li.uses_flat_scratch, 0
	.set _ZL27rocblas_axpy_kernel_batchedIiLi128ELi8E19rocblas_complex_numIfES1_PKPKS1_PKPS1_EviT3_lT4_lT_lT5_lSB_li.has_dyn_sized_stack, 0
	.set _ZL27rocblas_axpy_kernel_batchedIiLi128ELi8E19rocblas_complex_numIfES1_PKPKS1_PKPS1_EviT3_lT4_lT_lT5_lSB_li.has_recursion, 0
	.set _ZL27rocblas_axpy_kernel_batchedIiLi128ELi8E19rocblas_complex_numIfES1_PKPKS1_PKPS1_EviT3_lT4_lT_lT5_lSB_li.has_indirect_call, 0
	.section	.AMDGPU.csdata,"",@progbits
; Kernel info:
; codeLenInByte = 940
; TotalNumSgprs: 24
; NumVgprs: 12
; ScratchSize: 0
; MemoryBound: 0
; FloatMode: 240
; IeeeMode: 1
; LDSByteSize: 0 bytes/workgroup (compile time only)
; SGPRBlocks: 2
; VGPRBlocks: 2
; NumSGPRsForWavesPerEU: 24
; NumVGPRsForWavesPerEU: 12
; Occupancy: 10
; WaveLimiterHint : 1
; COMPUTE_PGM_RSRC2:SCRATCH_EN: 0
; COMPUTE_PGM_RSRC2:USER_SGPR: 6
; COMPUTE_PGM_RSRC2:TRAP_HANDLER: 0
; COMPUTE_PGM_RSRC2:TGID_X_EN: 1
; COMPUTE_PGM_RSRC2:TGID_Y_EN: 0
; COMPUTE_PGM_RSRC2:TGID_Z_EN: 1
; COMPUTE_PGM_RSRC2:TIDIG_COMP_CNT: 1
	.section	.text._ZL19rocblas_axpy_kernelIiLi256E19rocblas_complex_numIfEPKS1_PKS3_PKPS1_EviT2_lT3_lT_lT4_lSB_li,"axG",@progbits,_ZL19rocblas_axpy_kernelIiLi256E19rocblas_complex_numIfEPKS1_PKS3_PKPS1_EviT2_lT3_lT_lT4_lSB_li,comdat
	.globl	_ZL19rocblas_axpy_kernelIiLi256E19rocblas_complex_numIfEPKS1_PKS3_PKPS1_EviT2_lT3_lT_lT4_lSB_li ; -- Begin function _ZL19rocblas_axpy_kernelIiLi256E19rocblas_complex_numIfEPKS1_PKS3_PKPS1_EviT2_lT3_lT_lT4_lSB_li
	.p2align	8
	.type	_ZL19rocblas_axpy_kernelIiLi256E19rocblas_complex_numIfEPKS1_PKS3_PKPS1_EviT2_lT3_lT_lT4_lSB_li,@function
_ZL19rocblas_axpy_kernelIiLi256E19rocblas_complex_numIfEPKS1_PKS3_PKPS1_EviT2_lT3_lT_lT4_lSB_li: ; @_ZL19rocblas_axpy_kernelIiLi256E19rocblas_complex_numIfEPKS1_PKS3_PKPS1_EviT2_lT3_lT_lT4_lSB_li
; %bb.0:
	s_load_dword s12, s[4:5], 0x0
	s_load_dwordx4 s[8:11], s[4:5], 0x8
	v_lshl_or_b32 v0, s6, 8, v0
	v_mov_b32_e32 v1, 0
	s_mov_b32 s2, s7
	s_waitcnt lgkmcnt(0)
	s_ashr_i32 s13, s12, 31
	s_mul_i32 s0, s11, s7
	s_mul_hi_u32 s1, s10, s7
	s_add_i32 s1, s1, s0
	s_mul_i32 s0, s10, s7
	s_lshl_b64 s[0:1], s[0:1], 3
	s_add_u32 s8, s8, s0
	s_addc_u32 s9, s9, s1
	s_load_dwordx2 s[0:1], s[8:9], 0x0
	v_cmp_gt_i64_e32 vcc, s[12:13], v[0:1]
	s_mov_b32 s3, 0
	s_waitcnt lgkmcnt(0)
	s_or_b32 s6, s0, s1
	s_bitset0_b32 s6, 31
	s_cmp_lg_u32 s6, 0
	s_cselect_b64 s[6:7], -1, 0
	s_and_b64 s[6:7], vcc, s[6:7]
	s_and_saveexec_b64 s[8:9], s[6:7]
	s_cbranch_execz .LBB80_2
; %bb.1:
	s_load_dword s12, s[4:5], 0x28
	s_load_dwordx4 s[8:11], s[4:5], 0x18
	s_load_dword s16, s[4:5], 0x48
	s_lshl_b64 s[2:3], s[2:3], 3
	s_waitcnt lgkmcnt(0)
	v_mad_u64_u32 v[1:2], s[6:7], s12, v0, 0
	s_ashr_i32 s6, s12, 31
	s_ashr_i32 s17, s16, 31
	v_mad_u64_u32 v[2:3], s[6:7], s6, v0, v[2:3]
	s_add_u32 s6, s8, s2
	s_addc_u32 s7, s9, s3
	s_load_dwordx2 s[8:9], s[6:7], 0x0
	s_load_dwordx4 s[12:15], s[4:5], 0x38
	s_lshl_b64 s[4:5], s[10:11], 3
	v_mad_u64_u32 v[3:4], s[6:7], s16, v0, 0
	s_waitcnt lgkmcnt(0)
	s_add_u32 s8, s8, s4
	s_addc_u32 s4, s9, s5
	s_add_u32 s2, s12, s2
	s_addc_u32 s3, s13, s3
	s_load_dwordx2 s[2:3], s[2:3], 0x0
	v_mov_b32_e32 v6, s4
	v_mad_u64_u32 v[4:5], s[4:5], s17, v0, v[4:5]
	v_lshlrev_b64 v[1:2], 3, v[1:2]
	s_lshl_b64 s[4:5], s[14:15], 3
	v_add_co_u32_e32 v0, vcc, s8, v1
	v_addc_co_u32_e32 v1, vcc, v6, v2, vcc
	s_waitcnt lgkmcnt(0)
	s_add_u32 s2, s2, s4
	v_lshlrev_b64 v[2:3], 3, v[3:4]
	s_addc_u32 s3, s3, s5
	v_mov_b32_e32 v4, s3
	flat_load_dwordx2 v[0:1], v[0:1]
	v_add_co_u32_e32 v2, vcc, s2, v2
	v_addc_co_u32_e32 v3, vcc, v4, v3, vcc
	flat_load_dwordx2 v[4:5], v[2:3]
	s_waitcnt vmcnt(0) lgkmcnt(0)
	v_mul_f32_e32 v6, s1, v1
	v_mul_f32_e32 v1, s0, v1
	v_fma_f32 v6, v0, s0, -v6
	v_fmac_f32_e32 v1, s1, v0
	v_add_f32_e32 v0, v6, v4
	v_add_f32_e32 v1, v1, v5
	flat_store_dwordx2 v[2:3], v[0:1]
.LBB80_2:
	s_endpgm
	.section	.rodata,"a",@progbits
	.p2align	6, 0x0
	.amdhsa_kernel _ZL19rocblas_axpy_kernelIiLi256E19rocblas_complex_numIfEPKS1_PKS3_PKPS1_EviT2_lT3_lT_lT4_lSB_li
		.amdhsa_group_segment_fixed_size 0
		.amdhsa_private_segment_fixed_size 0
		.amdhsa_kernarg_size 92
		.amdhsa_user_sgpr_count 6
		.amdhsa_user_sgpr_private_segment_buffer 1
		.amdhsa_user_sgpr_dispatch_ptr 0
		.amdhsa_user_sgpr_queue_ptr 0
		.amdhsa_user_sgpr_kernarg_segment_ptr 1
		.amdhsa_user_sgpr_dispatch_id 0
		.amdhsa_user_sgpr_flat_scratch_init 0
		.amdhsa_user_sgpr_private_segment_size 0
		.amdhsa_uses_dynamic_stack 0
		.amdhsa_system_sgpr_private_segment_wavefront_offset 0
		.amdhsa_system_sgpr_workgroup_id_x 1
		.amdhsa_system_sgpr_workgroup_id_y 0
		.amdhsa_system_sgpr_workgroup_id_z 1
		.amdhsa_system_sgpr_workgroup_info 0
		.amdhsa_system_vgpr_workitem_id 0
		.amdhsa_next_free_vgpr 7
		.amdhsa_next_free_sgpr 18
		.amdhsa_reserve_vcc 1
		.amdhsa_reserve_flat_scratch 0
		.amdhsa_float_round_mode_32 0
		.amdhsa_float_round_mode_16_64 0
		.amdhsa_float_denorm_mode_32 3
		.amdhsa_float_denorm_mode_16_64 3
		.amdhsa_dx10_clamp 1
		.amdhsa_ieee_mode 1
		.amdhsa_fp16_overflow 0
		.amdhsa_exception_fp_ieee_invalid_op 0
		.amdhsa_exception_fp_denorm_src 0
		.amdhsa_exception_fp_ieee_div_zero 0
		.amdhsa_exception_fp_ieee_overflow 0
		.amdhsa_exception_fp_ieee_underflow 0
		.amdhsa_exception_fp_ieee_inexact 0
		.amdhsa_exception_int_div_zero 0
	.end_amdhsa_kernel
	.section	.text._ZL19rocblas_axpy_kernelIiLi256E19rocblas_complex_numIfEPKS1_PKS3_PKPS1_EviT2_lT3_lT_lT4_lSB_li,"axG",@progbits,_ZL19rocblas_axpy_kernelIiLi256E19rocblas_complex_numIfEPKS1_PKS3_PKPS1_EviT2_lT3_lT_lT4_lSB_li,comdat
.Lfunc_end80:
	.size	_ZL19rocblas_axpy_kernelIiLi256E19rocblas_complex_numIfEPKS1_PKS3_PKPS1_EviT2_lT3_lT_lT4_lSB_li, .Lfunc_end80-_ZL19rocblas_axpy_kernelIiLi256E19rocblas_complex_numIfEPKS1_PKS3_PKPS1_EviT2_lT3_lT_lT4_lSB_li
                                        ; -- End function
	.set _ZL19rocblas_axpy_kernelIiLi256E19rocblas_complex_numIfEPKS1_PKS3_PKPS1_EviT2_lT3_lT_lT4_lSB_li.num_vgpr, 7
	.set _ZL19rocblas_axpy_kernelIiLi256E19rocblas_complex_numIfEPKS1_PKS3_PKPS1_EviT2_lT3_lT_lT4_lSB_li.num_agpr, 0
	.set _ZL19rocblas_axpy_kernelIiLi256E19rocblas_complex_numIfEPKS1_PKS3_PKPS1_EviT2_lT3_lT_lT4_lSB_li.numbered_sgpr, 18
	.set _ZL19rocblas_axpy_kernelIiLi256E19rocblas_complex_numIfEPKS1_PKS3_PKPS1_EviT2_lT3_lT_lT4_lSB_li.num_named_barrier, 0
	.set _ZL19rocblas_axpy_kernelIiLi256E19rocblas_complex_numIfEPKS1_PKS3_PKPS1_EviT2_lT3_lT_lT4_lSB_li.private_seg_size, 0
	.set _ZL19rocblas_axpy_kernelIiLi256E19rocblas_complex_numIfEPKS1_PKS3_PKPS1_EviT2_lT3_lT_lT4_lSB_li.uses_vcc, 1
	.set _ZL19rocblas_axpy_kernelIiLi256E19rocblas_complex_numIfEPKS1_PKS3_PKPS1_EviT2_lT3_lT_lT4_lSB_li.uses_flat_scratch, 0
	.set _ZL19rocblas_axpy_kernelIiLi256E19rocblas_complex_numIfEPKS1_PKS3_PKPS1_EviT2_lT3_lT_lT4_lSB_li.has_dyn_sized_stack, 0
	.set _ZL19rocblas_axpy_kernelIiLi256E19rocblas_complex_numIfEPKS1_PKS3_PKPS1_EviT2_lT3_lT_lT4_lSB_li.has_recursion, 0
	.set _ZL19rocblas_axpy_kernelIiLi256E19rocblas_complex_numIfEPKS1_PKS3_PKPS1_EviT2_lT3_lT_lT4_lSB_li.has_indirect_call, 0
	.section	.AMDGPU.csdata,"",@progbits
; Kernel info:
; codeLenInByte = 360
; TotalNumSgprs: 22
; NumVgprs: 7
; ScratchSize: 0
; MemoryBound: 0
; FloatMode: 240
; IeeeMode: 1
; LDSByteSize: 0 bytes/workgroup (compile time only)
; SGPRBlocks: 2
; VGPRBlocks: 1
; NumSGPRsForWavesPerEU: 22
; NumVGPRsForWavesPerEU: 7
; Occupancy: 10
; WaveLimiterHint : 1
; COMPUTE_PGM_RSRC2:SCRATCH_EN: 0
; COMPUTE_PGM_RSRC2:USER_SGPR: 6
; COMPUTE_PGM_RSRC2:TRAP_HANDLER: 0
; COMPUTE_PGM_RSRC2:TGID_X_EN: 1
; COMPUTE_PGM_RSRC2:TGID_Y_EN: 0
; COMPUTE_PGM_RSRC2:TGID_Z_EN: 1
; COMPUTE_PGM_RSRC2:TIDIG_COMP_CNT: 0
	.section	.text._ZL19rocblas_axpy_kernelIiLi256E19rocblas_complex_numIfES1_PKPKS1_PKPS1_EviT2_lT3_lT_lT4_lSB_li,"axG",@progbits,_ZL19rocblas_axpy_kernelIiLi256E19rocblas_complex_numIfES1_PKPKS1_PKPS1_EviT2_lT3_lT_lT4_lSB_li,comdat
	.globl	_ZL19rocblas_axpy_kernelIiLi256E19rocblas_complex_numIfES1_PKPKS1_PKPS1_EviT2_lT3_lT_lT4_lSB_li ; -- Begin function _ZL19rocblas_axpy_kernelIiLi256E19rocblas_complex_numIfES1_PKPKS1_PKPS1_EviT2_lT3_lT_lT4_lSB_li
	.p2align	8
	.type	_ZL19rocblas_axpy_kernelIiLi256E19rocblas_complex_numIfES1_PKPKS1_PKPS1_EviT2_lT3_lT_lT4_lSB_li,@function
_ZL19rocblas_axpy_kernelIiLi256E19rocblas_complex_numIfES1_PKPKS1_PKPS1_EviT2_lT3_lT_lT4_lSB_li: ; @_ZL19rocblas_axpy_kernelIiLi256E19rocblas_complex_numIfES1_PKPKS1_PKPS1_EviT2_lT3_lT_lT4_lSB_li
; %bb.0:
	s_load_dwordx4 s[0:3], s[4:5], 0x0
	s_mov_b32 s8, s7
	v_lshl_or_b32 v0, s6, 8, v0
	v_mov_b32_e32 v1, 0
	s_mov_b32 s9, 0
	s_waitcnt lgkmcnt(0)
	s_or_b32 s3, s1, s2
	s_bitset0_b32 s3, 31
	s_cmp_lg_u32 s3, 0
	s_cselect_b64 s[6:7], -1, 0
	s_ashr_i32 s11, s0, 31
	s_mov_b32 s10, s0
	v_cmp_gt_i64_e32 vcc, s[10:11], v[0:1]
	s_and_b64 s[6:7], vcc, s[6:7]
	s_and_saveexec_b64 s[10:11], s[6:7]
	s_cbranch_execz .LBB81_2
; %bb.1:
	s_load_dword s0, s[4:5], 0x28
	s_load_dwordx4 s[12:15], s[4:5], 0x18
	s_load_dword s3, s[4:5], 0x48
	s_waitcnt lgkmcnt(0)
	v_mad_u64_u32 v[1:2], s[6:7], s0, v0, 0
	s_lshl_b64 s[6:7], s[8:9], 3
	s_ashr_i32 s0, s0, 31
	s_ashr_i32 s18, s3, 31
	s_add_u32 s12, s12, s6
	v_mad_u64_u32 v[2:3], s[8:9], s0, v0, v[2:3]
	s_addc_u32 s13, s13, s7
	s_load_dwordx2 s[16:17], s[12:13], 0x0
	s_load_dwordx4 s[8:11], s[4:5], 0x38
	v_mad_u64_u32 v[3:4], s[12:13], s3, v0, 0
	s_lshl_b64 s[4:5], s[14:15], 3
	s_waitcnt lgkmcnt(0)
	s_add_u32 s0, s16, s4
	s_addc_u32 s3, s17, s5
	v_mad_u64_u32 v[4:5], s[4:5], s18, v0, v[4:5]
	s_add_u32 s4, s8, s6
	s_addc_u32 s5, s9, s7
	s_load_dwordx2 s[4:5], s[4:5], 0x0
	v_lshlrev_b64 v[1:2], 3, v[1:2]
	v_mov_b32_e32 v6, s3
	v_add_co_u32_e32 v0, vcc, s0, v1
	s_lshl_b64 s[6:7], s[10:11], 3
	v_addc_co_u32_e32 v1, vcc, v6, v2, vcc
	s_waitcnt lgkmcnt(0)
	s_add_u32 s0, s4, s6
	v_lshlrev_b64 v[2:3], 3, v[3:4]
	s_addc_u32 s3, s5, s7
	v_mov_b32_e32 v4, s3
	flat_load_dwordx2 v[0:1], v[0:1]
	v_add_co_u32_e32 v2, vcc, s0, v2
	v_addc_co_u32_e32 v3, vcc, v4, v3, vcc
	flat_load_dwordx2 v[4:5], v[2:3]
	s_waitcnt vmcnt(0) lgkmcnt(0)
	v_mul_f32_e32 v6, s2, v1
	v_mul_f32_e32 v1, s1, v1
	v_fma_f32 v6, v0, s1, -v6
	v_fmac_f32_e32 v1, s2, v0
	v_add_f32_e32 v0, v6, v4
	v_add_f32_e32 v1, v1, v5
	flat_store_dwordx2 v[2:3], v[0:1]
.LBB81_2:
	s_endpgm
	.section	.rodata,"a",@progbits
	.p2align	6, 0x0
	.amdhsa_kernel _ZL19rocblas_axpy_kernelIiLi256E19rocblas_complex_numIfES1_PKPKS1_PKPS1_EviT2_lT3_lT_lT4_lSB_li
		.amdhsa_group_segment_fixed_size 0
		.amdhsa_private_segment_fixed_size 0
		.amdhsa_kernarg_size 92
		.amdhsa_user_sgpr_count 6
		.amdhsa_user_sgpr_private_segment_buffer 1
		.amdhsa_user_sgpr_dispatch_ptr 0
		.amdhsa_user_sgpr_queue_ptr 0
		.amdhsa_user_sgpr_kernarg_segment_ptr 1
		.amdhsa_user_sgpr_dispatch_id 0
		.amdhsa_user_sgpr_flat_scratch_init 0
		.amdhsa_user_sgpr_private_segment_size 0
		.amdhsa_uses_dynamic_stack 0
		.amdhsa_system_sgpr_private_segment_wavefront_offset 0
		.amdhsa_system_sgpr_workgroup_id_x 1
		.amdhsa_system_sgpr_workgroup_id_y 0
		.amdhsa_system_sgpr_workgroup_id_z 1
		.amdhsa_system_sgpr_workgroup_info 0
		.amdhsa_system_vgpr_workitem_id 0
		.amdhsa_next_free_vgpr 7
		.amdhsa_next_free_sgpr 19
		.amdhsa_reserve_vcc 1
		.amdhsa_reserve_flat_scratch 0
		.amdhsa_float_round_mode_32 0
		.amdhsa_float_round_mode_16_64 0
		.amdhsa_float_denorm_mode_32 3
		.amdhsa_float_denorm_mode_16_64 3
		.amdhsa_dx10_clamp 1
		.amdhsa_ieee_mode 1
		.amdhsa_fp16_overflow 0
		.amdhsa_exception_fp_ieee_invalid_op 0
		.amdhsa_exception_fp_denorm_src 0
		.amdhsa_exception_fp_ieee_div_zero 0
		.amdhsa_exception_fp_ieee_overflow 0
		.amdhsa_exception_fp_ieee_underflow 0
		.amdhsa_exception_fp_ieee_inexact 0
		.amdhsa_exception_int_div_zero 0
	.end_amdhsa_kernel
	.section	.text._ZL19rocblas_axpy_kernelIiLi256E19rocblas_complex_numIfES1_PKPKS1_PKPS1_EviT2_lT3_lT_lT4_lSB_li,"axG",@progbits,_ZL19rocblas_axpy_kernelIiLi256E19rocblas_complex_numIfES1_PKPKS1_PKPS1_EviT2_lT3_lT_lT4_lSB_li,comdat
.Lfunc_end81:
	.size	_ZL19rocblas_axpy_kernelIiLi256E19rocblas_complex_numIfES1_PKPKS1_PKPS1_EviT2_lT3_lT_lT4_lSB_li, .Lfunc_end81-_ZL19rocblas_axpy_kernelIiLi256E19rocblas_complex_numIfES1_PKPKS1_PKPS1_EviT2_lT3_lT_lT4_lSB_li
                                        ; -- End function
	.set _ZL19rocblas_axpy_kernelIiLi256E19rocblas_complex_numIfES1_PKPKS1_PKPS1_EviT2_lT3_lT_lT4_lSB_li.num_vgpr, 7
	.set _ZL19rocblas_axpy_kernelIiLi256E19rocblas_complex_numIfES1_PKPKS1_PKPS1_EviT2_lT3_lT_lT4_lSB_li.num_agpr, 0
	.set _ZL19rocblas_axpy_kernelIiLi256E19rocblas_complex_numIfES1_PKPKS1_PKPS1_EviT2_lT3_lT_lT4_lSB_li.numbered_sgpr, 19
	.set _ZL19rocblas_axpy_kernelIiLi256E19rocblas_complex_numIfES1_PKPKS1_PKPS1_EviT2_lT3_lT_lT4_lSB_li.num_named_barrier, 0
	.set _ZL19rocblas_axpy_kernelIiLi256E19rocblas_complex_numIfES1_PKPKS1_PKPS1_EviT2_lT3_lT_lT4_lSB_li.private_seg_size, 0
	.set _ZL19rocblas_axpy_kernelIiLi256E19rocblas_complex_numIfES1_PKPKS1_PKPS1_EviT2_lT3_lT_lT4_lSB_li.uses_vcc, 1
	.set _ZL19rocblas_axpy_kernelIiLi256E19rocblas_complex_numIfES1_PKPKS1_PKPS1_EviT2_lT3_lT_lT4_lSB_li.uses_flat_scratch, 0
	.set _ZL19rocblas_axpy_kernelIiLi256E19rocblas_complex_numIfES1_PKPKS1_PKPS1_EviT2_lT3_lT_lT4_lSB_li.has_dyn_sized_stack, 0
	.set _ZL19rocblas_axpy_kernelIiLi256E19rocblas_complex_numIfES1_PKPKS1_PKPS1_EviT2_lT3_lT_lT4_lSB_li.has_recursion, 0
	.set _ZL19rocblas_axpy_kernelIiLi256E19rocblas_complex_numIfES1_PKPKS1_PKPS1_EviT2_lT3_lT_lT4_lSB_li.has_indirect_call, 0
	.section	.AMDGPU.csdata,"",@progbits
; Kernel info:
; codeLenInByte = 316
; TotalNumSgprs: 23
; NumVgprs: 7
; ScratchSize: 0
; MemoryBound: 0
; FloatMode: 240
; IeeeMode: 1
; LDSByteSize: 0 bytes/workgroup (compile time only)
; SGPRBlocks: 2
; VGPRBlocks: 1
; NumSGPRsForWavesPerEU: 23
; NumVGPRsForWavesPerEU: 7
; Occupancy: 10
; WaveLimiterHint : 1
; COMPUTE_PGM_RSRC2:SCRATCH_EN: 0
; COMPUTE_PGM_RSRC2:USER_SGPR: 6
; COMPUTE_PGM_RSRC2:TRAP_HANDLER: 0
; COMPUTE_PGM_RSRC2:TGID_X_EN: 1
; COMPUTE_PGM_RSRC2:TGID_Y_EN: 0
; COMPUTE_PGM_RSRC2:TGID_Z_EN: 1
; COMPUTE_PGM_RSRC2:TIDIG_COMP_CNT: 0
	.section	.text._ZL26rocblas_haxpy_mlt_8_kernelILi256EPKDF16_PKPK19rocblas_complex_numIdEPKPS3_EviT0_lT1_llT2_lli,"axG",@progbits,_ZL26rocblas_haxpy_mlt_8_kernelILi256EPKDF16_PKPK19rocblas_complex_numIdEPKPS3_EviT0_lT1_llT2_lli,comdat
	.globl	_ZL26rocblas_haxpy_mlt_8_kernelILi256EPKDF16_PKPK19rocblas_complex_numIdEPKPS3_EviT0_lT1_llT2_lli ; -- Begin function _ZL26rocblas_haxpy_mlt_8_kernelILi256EPKDF16_PKPK19rocblas_complex_numIdEPKPS3_EviT0_lT1_llT2_lli
	.p2align	8
	.type	_ZL26rocblas_haxpy_mlt_8_kernelILi256EPKDF16_PKPK19rocblas_complex_numIdEPKPS3_EviT0_lT1_llT2_lli,@function
_ZL26rocblas_haxpy_mlt_8_kernelILi256EPKDF16_PKPK19rocblas_complex_numIdEPKPS3_EviT0_lT1_llT2_lli: ; @_ZL26rocblas_haxpy_mlt_8_kernelILi256EPKDF16_PKPK19rocblas_complex_numIdEPKPS3_EviT0_lT1_llT2_lli
; %bb.0:
	s_load_dwordx8 s[8:15], s[4:5], 0x8
	v_mov_b32_e32 v1, 0
	s_waitcnt lgkmcnt(0)
	s_mul_i32 s1, s11, s7
	s_mul_hi_u32 s2, s10, s7
	s_add_i32 s3, s2, s1
	s_mul_i32 s2, s10, s7
	s_lshl_b64 s[2:3], s[2:3], 1
	s_add_u32 s2, s8, s2
	s_addc_u32 s3, s9, s3
	global_load_ushort v2, v1, s[2:3]
	s_mov_b32 s1, 0
	s_waitcnt vmcnt(0)
	v_and_b32_e32 v3, 0xffff, v2
	v_lshl_or_b32 v3, v2, 16, v3
	v_and_b32_e32 v3, 0x7fff, v3
	v_cmp_eq_u32_e32 vcc, 0, v3
	s_cbranch_vccnz .LBB82_3
; %bb.1:
	s_load_dword s2, s[4:5], 0x0
	v_lshl_or_b32 v0, s6, 8, v0
	v_lshlrev_b64 v[0:1], 3, v[0:1]
	s_waitcnt lgkmcnt(0)
	s_ashr_i32 s3, s2, 31
	v_cmp_gt_i64_e32 vcc, s[2:3], v[0:1]
	s_and_saveexec_b64 s[2:3], vcc
	s_cbranch_execz .LBB82_3
; %bb.2:
	s_mov_b32 s0, s7
	s_lshl_b64 s[6:7], s[0:1], 3
	s_add_u32 s8, s12, s6
	s_addc_u32 s9, s13, s7
	s_load_dwordx2 s[10:11], s[8:9], 0x0
	s_load_dwordx4 s[0:3], s[4:5], 0x30
	s_lshl_b64 s[4:5], s[14:15], 4
	v_lshlrev_b64 v[0:1], 4, v[0:1]
	s_waitcnt lgkmcnt(0)
	s_add_u32 s4, s10, s4
	s_addc_u32 s5, s11, s5
	s_add_u32 s0, s0, s6
	s_addc_u32 s1, s1, s7
	s_load_dwordx2 s[0:1], s[0:1], 0x0
	s_lshl_b64 s[2:3], s[2:3], 4
	v_mov_b32_e32 v3, s5
	v_add_co_u32_e32 v11, vcc, s4, v0
	s_waitcnt lgkmcnt(0)
	s_add_u32 s0, s0, s2
	v_addc_co_u32_e32 v12, vcc, v3, v1, vcc
	s_addc_u32 s1, s1, s3
	v_mov_b32_e32 v3, s1
	v_add_co_u32_e32 v0, vcc, s0, v0
	v_addc_co_u32_e32 v1, vcc, v3, v1, vcc
	flat_load_dwordx4 v[3:6], v[11:12]
	flat_load_dwordx4 v[7:10], v[0:1]
	s_waitcnt vmcnt(0) lgkmcnt(0)
	v_pk_fma_f16 v6, v2, v6, v10 op_sel_hi:[0,1,1]
	v_pk_fma_f16 v5, v2, v5, v9 op_sel_hi:[0,1,1]
	;; [unrolled: 1-line block ×4, first 2 shown]
	flat_store_dwordx4 v[0:1], v[3:6]
.LBB82_3:
	s_endpgm
	.section	.rodata,"a",@progbits
	.p2align	6, 0x0
	.amdhsa_kernel _ZL26rocblas_haxpy_mlt_8_kernelILi256EPKDF16_PKPK19rocblas_complex_numIdEPKPS3_EviT0_lT1_llT2_lli
		.amdhsa_group_segment_fixed_size 0
		.amdhsa_private_segment_fixed_size 0
		.amdhsa_kernarg_size 76
		.amdhsa_user_sgpr_count 6
		.amdhsa_user_sgpr_private_segment_buffer 1
		.amdhsa_user_sgpr_dispatch_ptr 0
		.amdhsa_user_sgpr_queue_ptr 0
		.amdhsa_user_sgpr_kernarg_segment_ptr 1
		.amdhsa_user_sgpr_dispatch_id 0
		.amdhsa_user_sgpr_flat_scratch_init 0
		.amdhsa_user_sgpr_private_segment_size 0
		.amdhsa_uses_dynamic_stack 0
		.amdhsa_system_sgpr_private_segment_wavefront_offset 0
		.amdhsa_system_sgpr_workgroup_id_x 1
		.amdhsa_system_sgpr_workgroup_id_y 0
		.amdhsa_system_sgpr_workgroup_id_z 1
		.amdhsa_system_sgpr_workgroup_info 0
		.amdhsa_system_vgpr_workitem_id 0
		.amdhsa_next_free_vgpr 13
		.amdhsa_next_free_sgpr 16
		.amdhsa_reserve_vcc 1
		.amdhsa_reserve_flat_scratch 0
		.amdhsa_float_round_mode_32 0
		.amdhsa_float_round_mode_16_64 0
		.amdhsa_float_denorm_mode_32 3
		.amdhsa_float_denorm_mode_16_64 3
		.amdhsa_dx10_clamp 1
		.amdhsa_ieee_mode 1
		.amdhsa_fp16_overflow 0
		.amdhsa_exception_fp_ieee_invalid_op 0
		.amdhsa_exception_fp_denorm_src 0
		.amdhsa_exception_fp_ieee_div_zero 0
		.amdhsa_exception_fp_ieee_overflow 0
		.amdhsa_exception_fp_ieee_underflow 0
		.amdhsa_exception_fp_ieee_inexact 0
		.amdhsa_exception_int_div_zero 0
	.end_amdhsa_kernel
	.section	.text._ZL26rocblas_haxpy_mlt_8_kernelILi256EPKDF16_PKPK19rocblas_complex_numIdEPKPS3_EviT0_lT1_llT2_lli,"axG",@progbits,_ZL26rocblas_haxpy_mlt_8_kernelILi256EPKDF16_PKPK19rocblas_complex_numIdEPKPS3_EviT0_lT1_llT2_lli,comdat
.Lfunc_end82:
	.size	_ZL26rocblas_haxpy_mlt_8_kernelILi256EPKDF16_PKPK19rocblas_complex_numIdEPKPS3_EviT0_lT1_llT2_lli, .Lfunc_end82-_ZL26rocblas_haxpy_mlt_8_kernelILi256EPKDF16_PKPK19rocblas_complex_numIdEPKPS3_EviT0_lT1_llT2_lli
                                        ; -- End function
	.set _ZL26rocblas_haxpy_mlt_8_kernelILi256EPKDF16_PKPK19rocblas_complex_numIdEPKPS3_EviT0_lT1_llT2_lli.num_vgpr, 13
	.set _ZL26rocblas_haxpy_mlt_8_kernelILi256EPKDF16_PKPK19rocblas_complex_numIdEPKPS3_EviT0_lT1_llT2_lli.num_agpr, 0
	.set _ZL26rocblas_haxpy_mlt_8_kernelILi256EPKDF16_PKPK19rocblas_complex_numIdEPKPS3_EviT0_lT1_llT2_lli.numbered_sgpr, 16
	.set _ZL26rocblas_haxpy_mlt_8_kernelILi256EPKDF16_PKPK19rocblas_complex_numIdEPKPS3_EviT0_lT1_llT2_lli.num_named_barrier, 0
	.set _ZL26rocblas_haxpy_mlt_8_kernelILi256EPKDF16_PKPK19rocblas_complex_numIdEPKPS3_EviT0_lT1_llT2_lli.private_seg_size, 0
	.set _ZL26rocblas_haxpy_mlt_8_kernelILi256EPKDF16_PKPK19rocblas_complex_numIdEPKPS3_EviT0_lT1_llT2_lli.uses_vcc, 1
	.set _ZL26rocblas_haxpy_mlt_8_kernelILi256EPKDF16_PKPK19rocblas_complex_numIdEPKPS3_EviT0_lT1_llT2_lli.uses_flat_scratch, 0
	.set _ZL26rocblas_haxpy_mlt_8_kernelILi256EPKDF16_PKPK19rocblas_complex_numIdEPKPS3_EviT0_lT1_llT2_lli.has_dyn_sized_stack, 0
	.set _ZL26rocblas_haxpy_mlt_8_kernelILi256EPKDF16_PKPK19rocblas_complex_numIdEPKPS3_EviT0_lT1_llT2_lli.has_recursion, 0
	.set _ZL26rocblas_haxpy_mlt_8_kernelILi256EPKDF16_PKPK19rocblas_complex_numIdEPKPS3_EviT0_lT1_llT2_lli.has_indirect_call, 0
	.section	.AMDGPU.csdata,"",@progbits
; Kernel info:
; codeLenInByte = 312
; TotalNumSgprs: 20
; NumVgprs: 13
; ScratchSize: 0
; MemoryBound: 0
; FloatMode: 240
; IeeeMode: 1
; LDSByteSize: 0 bytes/workgroup (compile time only)
; SGPRBlocks: 2
; VGPRBlocks: 3
; NumSGPRsForWavesPerEU: 20
; NumVGPRsForWavesPerEU: 13
; Occupancy: 10
; WaveLimiterHint : 1
; COMPUTE_PGM_RSRC2:SCRATCH_EN: 0
; COMPUTE_PGM_RSRC2:USER_SGPR: 6
; COMPUTE_PGM_RSRC2:TRAP_HANDLER: 0
; COMPUTE_PGM_RSRC2:TGID_X_EN: 1
; COMPUTE_PGM_RSRC2:TGID_Y_EN: 0
; COMPUTE_PGM_RSRC2:TGID_Z_EN: 1
; COMPUTE_PGM_RSRC2:TIDIG_COMP_CNT: 0
	.section	.text._ZL26rocblas_haxpy_mod_8_kernelILi256EPK19rocblas_complex_numIdEPKS3_PKPS1_EviT0_lT1_llT2_lli,"axG",@progbits,_ZL26rocblas_haxpy_mod_8_kernelILi256EPK19rocblas_complex_numIdEPKS3_PKPS1_EviT0_lT1_llT2_lli,comdat
	.globl	_ZL26rocblas_haxpy_mod_8_kernelILi256EPK19rocblas_complex_numIdEPKS3_PKPS1_EviT0_lT1_llT2_lli ; -- Begin function _ZL26rocblas_haxpy_mod_8_kernelILi256EPK19rocblas_complex_numIdEPKS3_PKPS1_EviT0_lT1_llT2_lli
	.p2align	8
	.type	_ZL26rocblas_haxpy_mod_8_kernelILi256EPK19rocblas_complex_numIdEPKS3_PKPS1_EviT0_lT1_llT2_lli,@function
_ZL26rocblas_haxpy_mod_8_kernelILi256EPK19rocblas_complex_numIdEPKS3_PKPS1_EviT0_lT1_llT2_lli: ; @_ZL26rocblas_haxpy_mod_8_kernelILi256EPK19rocblas_complex_numIdEPKS3_PKPS1_EviT0_lT1_llT2_lli
; %bb.0:
	s_load_dword s18, s[4:5], 0x0
	s_load_dwordx8 s[8:15], s[4:5], 0x8
	v_lshl_or_b32 v0, s6, 8, v0
	v_mov_b32_e32 v1, 0
	s_mov_b32 s16, s7
	s_waitcnt lgkmcnt(0)
	s_ashr_i32 s19, s18, 31
	s_mul_i32 s0, s11, s7
	s_mul_hi_u32 s1, s10, s7
	s_add_i32 s1, s1, s0
	s_mul_i32 s0, s10, s7
	s_lshl_b64 s[0:1], s[0:1], 4
	s_add_u32 s8, s8, s0
	s_addc_u32 s9, s9, s1
	s_load_dwordx4 s[0:3], s[8:9], 0x0
	v_cmp_gt_i64_e32 vcc, s[18:19], v[0:1]
	s_waitcnt lgkmcnt(0)
	v_cmp_neq_f64_e64 s[8:9], s[0:1], 0
	v_cmp_neq_f64_e64 s[10:11], s[2:3], 0
	s_or_b64 s[6:7], s[8:9], s[10:11]
	s_and_b64 s[6:7], vcc, s[6:7]
	s_and_saveexec_b64 s[8:9], s[6:7]
	s_cbranch_execz .LBB83_2
; %bb.1:
	s_mov_b32 s17, 0
	s_lshl_b64 s[6:7], s[16:17], 3
	s_add_u32 s12, s12, s6
	s_addc_u32 s13, s13, s7
	s_load_dwordx2 s[16:17], s[12:13], 0x0
	s_load_dwordx4 s[8:11], s[4:5], 0x30
	s_lshl_b64 s[4:5], s[14:15], 4
	v_lshlrev_b64 v[4:5], 4, v[0:1]
	s_waitcnt lgkmcnt(0)
	s_add_u32 s4, s16, s4
	s_addc_u32 s5, s17, s5
	v_mov_b32_e32 v1, s5
	v_add_co_u32_e32 v0, vcc, s4, v4
	v_addc_co_u32_e32 v1, vcc, v1, v5, vcc
	flat_load_dwordx4 v[0:3], v[0:1]
	s_add_u32 s4, s8, s6
	s_addc_u32 s5, s9, s7
	s_load_dwordx2 s[4:5], s[4:5], 0x0
	s_lshl_b64 s[6:7], s[10:11], 4
	s_waitcnt lgkmcnt(0)
	s_add_u32 s4, s4, s6
	s_addc_u32 s5, s5, s7
	v_mov_b32_e32 v6, s5
	v_add_co_u32_e32 v8, vcc, s4, v4
	v_addc_co_u32_e32 v9, vcc, v6, v5, vcc
	flat_load_dwordx4 v[4:7], v[8:9]
	s_waitcnt vmcnt(0)
	v_mul_f64 v[10:11], s[2:3], v[2:3]
	v_mul_f64 v[2:3], s[0:1], v[2:3]
	v_fma_f64 v[10:11], s[0:1], v[0:1], -v[10:11]
	v_fma_f64 v[2:3], s[2:3], v[0:1], v[2:3]
	s_waitcnt lgkmcnt(0)
	v_add_f64 v[0:1], v[4:5], v[10:11]
	v_add_f64 v[2:3], v[2:3], v[6:7]
	flat_store_dwordx4 v[8:9], v[0:3]
.LBB83_2:
	s_endpgm
	.section	.rodata,"a",@progbits
	.p2align	6, 0x0
	.amdhsa_kernel _ZL26rocblas_haxpy_mod_8_kernelILi256EPK19rocblas_complex_numIdEPKS3_PKPS1_EviT0_lT1_llT2_lli
		.amdhsa_group_segment_fixed_size 0
		.amdhsa_private_segment_fixed_size 0
		.amdhsa_kernarg_size 76
		.amdhsa_user_sgpr_count 6
		.amdhsa_user_sgpr_private_segment_buffer 1
		.amdhsa_user_sgpr_dispatch_ptr 0
		.amdhsa_user_sgpr_queue_ptr 0
		.amdhsa_user_sgpr_kernarg_segment_ptr 1
		.amdhsa_user_sgpr_dispatch_id 0
		.amdhsa_user_sgpr_flat_scratch_init 0
		.amdhsa_user_sgpr_private_segment_size 0
		.amdhsa_uses_dynamic_stack 0
		.amdhsa_system_sgpr_private_segment_wavefront_offset 0
		.amdhsa_system_sgpr_workgroup_id_x 1
		.amdhsa_system_sgpr_workgroup_id_y 0
		.amdhsa_system_sgpr_workgroup_id_z 1
		.amdhsa_system_sgpr_workgroup_info 0
		.amdhsa_system_vgpr_workitem_id 0
		.amdhsa_next_free_vgpr 12
		.amdhsa_next_free_sgpr 20
		.amdhsa_reserve_vcc 1
		.amdhsa_reserve_flat_scratch 0
		.amdhsa_float_round_mode_32 0
		.amdhsa_float_round_mode_16_64 0
		.amdhsa_float_denorm_mode_32 3
		.amdhsa_float_denorm_mode_16_64 3
		.amdhsa_dx10_clamp 1
		.amdhsa_ieee_mode 1
		.amdhsa_fp16_overflow 0
		.amdhsa_exception_fp_ieee_invalid_op 0
		.amdhsa_exception_fp_denorm_src 0
		.amdhsa_exception_fp_ieee_div_zero 0
		.amdhsa_exception_fp_ieee_overflow 0
		.amdhsa_exception_fp_ieee_underflow 0
		.amdhsa_exception_fp_ieee_inexact 0
		.amdhsa_exception_int_div_zero 0
	.end_amdhsa_kernel
	.section	.text._ZL26rocblas_haxpy_mod_8_kernelILi256EPK19rocblas_complex_numIdEPKS3_PKPS1_EviT0_lT1_llT2_lli,"axG",@progbits,_ZL26rocblas_haxpy_mod_8_kernelILi256EPK19rocblas_complex_numIdEPKS3_PKPS1_EviT0_lT1_llT2_lli,comdat
.Lfunc_end83:
	.size	_ZL26rocblas_haxpy_mod_8_kernelILi256EPK19rocblas_complex_numIdEPKS3_PKPS1_EviT0_lT1_llT2_lli, .Lfunc_end83-_ZL26rocblas_haxpy_mod_8_kernelILi256EPK19rocblas_complex_numIdEPKS3_PKPS1_EviT0_lT1_llT2_lli
                                        ; -- End function
	.set _ZL26rocblas_haxpy_mod_8_kernelILi256EPK19rocblas_complex_numIdEPKS3_PKPS1_EviT0_lT1_llT2_lli.num_vgpr, 12
	.set _ZL26rocblas_haxpy_mod_8_kernelILi256EPK19rocblas_complex_numIdEPKS3_PKPS1_EviT0_lT1_llT2_lli.num_agpr, 0
	.set _ZL26rocblas_haxpy_mod_8_kernelILi256EPK19rocblas_complex_numIdEPKS3_PKPS1_EviT0_lT1_llT2_lli.numbered_sgpr, 20
	.set _ZL26rocblas_haxpy_mod_8_kernelILi256EPK19rocblas_complex_numIdEPKS3_PKPS1_EviT0_lT1_llT2_lli.num_named_barrier, 0
	.set _ZL26rocblas_haxpy_mod_8_kernelILi256EPK19rocblas_complex_numIdEPKS3_PKPS1_EviT0_lT1_llT2_lli.private_seg_size, 0
	.set _ZL26rocblas_haxpy_mod_8_kernelILi256EPK19rocblas_complex_numIdEPKS3_PKPS1_EviT0_lT1_llT2_lli.uses_vcc, 1
	.set _ZL26rocblas_haxpy_mod_8_kernelILi256EPK19rocblas_complex_numIdEPKS3_PKPS1_EviT0_lT1_llT2_lli.uses_flat_scratch, 0
	.set _ZL26rocblas_haxpy_mod_8_kernelILi256EPK19rocblas_complex_numIdEPKS3_PKPS1_EviT0_lT1_llT2_lli.has_dyn_sized_stack, 0
	.set _ZL26rocblas_haxpy_mod_8_kernelILi256EPK19rocblas_complex_numIdEPKS3_PKPS1_EviT0_lT1_llT2_lli.has_recursion, 0
	.set _ZL26rocblas_haxpy_mod_8_kernelILi256EPK19rocblas_complex_numIdEPKS3_PKPS1_EviT0_lT1_llT2_lli.has_indirect_call, 0
	.section	.AMDGPU.csdata,"",@progbits
; Kernel info:
; codeLenInByte = 312
; TotalNumSgprs: 24
; NumVgprs: 12
; ScratchSize: 0
; MemoryBound: 0
; FloatMode: 240
; IeeeMode: 1
; LDSByteSize: 0 bytes/workgroup (compile time only)
; SGPRBlocks: 2
; VGPRBlocks: 2
; NumSGPRsForWavesPerEU: 24
; NumVGPRsForWavesPerEU: 12
; Occupancy: 10
; WaveLimiterHint : 1
; COMPUTE_PGM_RSRC2:SCRATCH_EN: 0
; COMPUTE_PGM_RSRC2:USER_SGPR: 6
; COMPUTE_PGM_RSRC2:TRAP_HANDLER: 0
; COMPUTE_PGM_RSRC2:TGID_X_EN: 1
; COMPUTE_PGM_RSRC2:TGID_Y_EN: 0
; COMPUTE_PGM_RSRC2:TGID_Z_EN: 1
; COMPUTE_PGM_RSRC2:TIDIG_COMP_CNT: 0
	.section	.text._ZL26rocblas_haxpy_mlt_8_kernelILi256EDF16_PKPK19rocblas_complex_numIdEPKPS1_EviT0_lT1_llT2_lli,"axG",@progbits,_ZL26rocblas_haxpy_mlt_8_kernelILi256EDF16_PKPK19rocblas_complex_numIdEPKPS1_EviT0_lT1_llT2_lli,comdat
	.globl	_ZL26rocblas_haxpy_mlt_8_kernelILi256EDF16_PKPK19rocblas_complex_numIdEPKPS1_EviT0_lT1_llT2_lli ; -- Begin function _ZL26rocblas_haxpy_mlt_8_kernelILi256EDF16_PKPK19rocblas_complex_numIdEPKPS1_EviT0_lT1_llT2_lli
	.p2align	8
	.type	_ZL26rocblas_haxpy_mlt_8_kernelILi256EDF16_PKPK19rocblas_complex_numIdEPKPS1_EviT0_lT1_llT2_lli,@function
_ZL26rocblas_haxpy_mlt_8_kernelILi256EDF16_PKPK19rocblas_complex_numIdEPKPS1_EviT0_lT1_llT2_lli: ; @_ZL26rocblas_haxpy_mlt_8_kernelILi256EDF16_PKPK19rocblas_complex_numIdEPKPS1_EviT0_lT1_llT2_lli
; %bb.0:
	s_load_dwordx2 s[0:1], s[4:5], 0x0
	s_waitcnt lgkmcnt(0)
	s_pack_ll_b32_b16 s3, s1, s1
	s_and_b32 s3, s3, 0x7fff
	s_cmp_eq_u32 s3, 0
	s_cbranch_scc1 .LBB84_3
; %bb.1:
	v_lshl_or_b32 v0, s6, 8, v0
	v_mov_b32_e32 v1, 0
	v_lshlrev_b64 v[0:1], 3, v[0:1]
	s_mov_b32 s2, s7
	s_ashr_i32 s7, s0, 31
	s_mov_b32 s6, s0
	v_cmp_gt_i64_e32 vcc, s[6:7], v[0:1]
	s_and_saveexec_b64 s[6:7], vcc
	s_cbranch_execz .LBB84_3
; %bb.2:
	s_load_dwordx4 s[8:11], s[4:5], 0x10
	s_load_dwordx4 s[12:15], s[4:5], 0x28
	s_mov_b32 s3, 0
	s_lshl_b64 s[2:3], s[2:3], 3
	v_lshlrev_b64 v[0:1], 4, v[0:1]
	s_waitcnt lgkmcnt(0)
	s_add_u32 s4, s8, s2
	s_addc_u32 s5, s9, s3
	s_load_dwordx2 s[4:5], s[4:5], 0x0
	s_lshl_b64 s[6:7], s[10:11], 4
	s_waitcnt lgkmcnt(0)
	s_add_u32 s0, s4, s6
	s_addc_u32 s4, s5, s7
	s_add_u32 s2, s12, s2
	s_addc_u32 s3, s13, s3
	s_load_dwordx2 s[2:3], s[2:3], 0x0
	v_mov_b32_e32 v2, s4
	s_lshl_b64 s[4:5], s[14:15], 4
	v_add_co_u32_e32 v8, vcc, s0, v0
	s_waitcnt lgkmcnt(0)
	s_add_u32 s0, s2, s4
	v_addc_co_u32_e32 v9, vcc, v2, v1, vcc
	s_addc_u32 s2, s3, s5
	v_mov_b32_e32 v2, s2
	v_add_co_u32_e32 v10, vcc, s0, v0
	v_addc_co_u32_e32 v11, vcc, v2, v1, vcc
	flat_load_dwordx4 v[0:3], v[8:9]
	flat_load_dwordx4 v[4:7], v[10:11]
	s_waitcnt vmcnt(0) lgkmcnt(0)
	v_pk_fma_f16 v3, s1, v3, v7 op_sel_hi:[0,1,1]
	v_pk_fma_f16 v2, s1, v2, v6 op_sel_hi:[0,1,1]
	;; [unrolled: 1-line block ×4, first 2 shown]
	flat_store_dwordx4 v[10:11], v[0:3]
.LBB84_3:
	s_endpgm
	.section	.rodata,"a",@progbits
	.p2align	6, 0x0
	.amdhsa_kernel _ZL26rocblas_haxpy_mlt_8_kernelILi256EDF16_PKPK19rocblas_complex_numIdEPKPS1_EviT0_lT1_llT2_lli
		.amdhsa_group_segment_fixed_size 0
		.amdhsa_private_segment_fixed_size 0
		.amdhsa_kernarg_size 68
		.amdhsa_user_sgpr_count 6
		.amdhsa_user_sgpr_private_segment_buffer 1
		.amdhsa_user_sgpr_dispatch_ptr 0
		.amdhsa_user_sgpr_queue_ptr 0
		.amdhsa_user_sgpr_kernarg_segment_ptr 1
		.amdhsa_user_sgpr_dispatch_id 0
		.amdhsa_user_sgpr_flat_scratch_init 0
		.amdhsa_user_sgpr_private_segment_size 0
		.amdhsa_uses_dynamic_stack 0
		.amdhsa_system_sgpr_private_segment_wavefront_offset 0
		.amdhsa_system_sgpr_workgroup_id_x 1
		.amdhsa_system_sgpr_workgroup_id_y 0
		.amdhsa_system_sgpr_workgroup_id_z 1
		.amdhsa_system_sgpr_workgroup_info 0
		.amdhsa_system_vgpr_workitem_id 0
		.amdhsa_next_free_vgpr 12
		.amdhsa_next_free_sgpr 16
		.amdhsa_reserve_vcc 1
		.amdhsa_reserve_flat_scratch 0
		.amdhsa_float_round_mode_32 0
		.amdhsa_float_round_mode_16_64 0
		.amdhsa_float_denorm_mode_32 3
		.amdhsa_float_denorm_mode_16_64 3
		.amdhsa_dx10_clamp 1
		.amdhsa_ieee_mode 1
		.amdhsa_fp16_overflow 0
		.amdhsa_exception_fp_ieee_invalid_op 0
		.amdhsa_exception_fp_denorm_src 0
		.amdhsa_exception_fp_ieee_div_zero 0
		.amdhsa_exception_fp_ieee_overflow 0
		.amdhsa_exception_fp_ieee_underflow 0
		.amdhsa_exception_fp_ieee_inexact 0
		.amdhsa_exception_int_div_zero 0
	.end_amdhsa_kernel
	.section	.text._ZL26rocblas_haxpy_mlt_8_kernelILi256EDF16_PKPK19rocblas_complex_numIdEPKPS1_EviT0_lT1_llT2_lli,"axG",@progbits,_ZL26rocblas_haxpy_mlt_8_kernelILi256EDF16_PKPK19rocblas_complex_numIdEPKPS1_EviT0_lT1_llT2_lli,comdat
.Lfunc_end84:
	.size	_ZL26rocblas_haxpy_mlt_8_kernelILi256EDF16_PKPK19rocblas_complex_numIdEPKPS1_EviT0_lT1_llT2_lli, .Lfunc_end84-_ZL26rocblas_haxpy_mlt_8_kernelILi256EDF16_PKPK19rocblas_complex_numIdEPKPS1_EviT0_lT1_llT2_lli
                                        ; -- End function
	.set _ZL26rocblas_haxpy_mlt_8_kernelILi256EDF16_PKPK19rocblas_complex_numIdEPKPS1_EviT0_lT1_llT2_lli.num_vgpr, 12
	.set _ZL26rocblas_haxpy_mlt_8_kernelILi256EDF16_PKPK19rocblas_complex_numIdEPKPS1_EviT0_lT1_llT2_lli.num_agpr, 0
	.set _ZL26rocblas_haxpy_mlt_8_kernelILi256EDF16_PKPK19rocblas_complex_numIdEPKPS1_EviT0_lT1_llT2_lli.numbered_sgpr, 16
	.set _ZL26rocblas_haxpy_mlt_8_kernelILi256EDF16_PKPK19rocblas_complex_numIdEPKPS1_EviT0_lT1_llT2_lli.num_named_barrier, 0
	.set _ZL26rocblas_haxpy_mlt_8_kernelILi256EDF16_PKPK19rocblas_complex_numIdEPKPS1_EviT0_lT1_llT2_lli.private_seg_size, 0
	.set _ZL26rocblas_haxpy_mlt_8_kernelILi256EDF16_PKPK19rocblas_complex_numIdEPKPS1_EviT0_lT1_llT2_lli.uses_vcc, 1
	.set _ZL26rocblas_haxpy_mlt_8_kernelILi256EDF16_PKPK19rocblas_complex_numIdEPKPS1_EviT0_lT1_llT2_lli.uses_flat_scratch, 0
	.set _ZL26rocblas_haxpy_mlt_8_kernelILi256EDF16_PKPK19rocblas_complex_numIdEPKPS1_EviT0_lT1_llT2_lli.has_dyn_sized_stack, 0
	.set _ZL26rocblas_haxpy_mlt_8_kernelILi256EDF16_PKPK19rocblas_complex_numIdEPKPS1_EviT0_lT1_llT2_lli.has_recursion, 0
	.set _ZL26rocblas_haxpy_mlt_8_kernelILi256EDF16_PKPK19rocblas_complex_numIdEPKPS1_EviT0_lT1_llT2_lli.has_indirect_call, 0
	.section	.AMDGPU.csdata,"",@progbits
; Kernel info:
; codeLenInByte = 264
; TotalNumSgprs: 20
; NumVgprs: 12
; ScratchSize: 0
; MemoryBound: 0
; FloatMode: 240
; IeeeMode: 1
; LDSByteSize: 0 bytes/workgroup (compile time only)
; SGPRBlocks: 2
; VGPRBlocks: 2
; NumSGPRsForWavesPerEU: 20
; NumVGPRsForWavesPerEU: 12
; Occupancy: 10
; WaveLimiterHint : 1
; COMPUTE_PGM_RSRC2:SCRATCH_EN: 0
; COMPUTE_PGM_RSRC2:USER_SGPR: 6
; COMPUTE_PGM_RSRC2:TRAP_HANDLER: 0
; COMPUTE_PGM_RSRC2:TGID_X_EN: 1
; COMPUTE_PGM_RSRC2:TGID_Y_EN: 0
; COMPUTE_PGM_RSRC2:TGID_Z_EN: 1
; COMPUTE_PGM_RSRC2:TIDIG_COMP_CNT: 0
	.section	.text._ZL26rocblas_haxpy_mod_8_kernelILi256E19rocblas_complex_numIdEPKPKS1_PKPS1_EviT0_lT1_llT2_lli,"axG",@progbits,_ZL26rocblas_haxpy_mod_8_kernelILi256E19rocblas_complex_numIdEPKPKS1_PKPS1_EviT0_lT1_llT2_lli,comdat
	.globl	_ZL26rocblas_haxpy_mod_8_kernelILi256E19rocblas_complex_numIdEPKPKS1_PKPS1_EviT0_lT1_llT2_lli ; -- Begin function _ZL26rocblas_haxpy_mod_8_kernelILi256E19rocblas_complex_numIdEPKPKS1_PKPS1_EviT0_lT1_llT2_lli
	.p2align	8
	.type	_ZL26rocblas_haxpy_mod_8_kernelILi256E19rocblas_complex_numIdEPKPKS1_PKPS1_EviT0_lT1_llT2_lli,@function
_ZL26rocblas_haxpy_mod_8_kernelILi256E19rocblas_complex_numIdEPKPKS1_PKPS1_EviT0_lT1_llT2_lli: ; @_ZL26rocblas_haxpy_mod_8_kernelILi256E19rocblas_complex_numIdEPKPKS1_PKPS1_EviT0_lT1_llT2_lli
; %bb.0:
	s_load_dwordx4 s[0:3], s[4:5], 0x8
	s_load_dword s10, s[4:5], 0x0
	v_lshl_or_b32 v0, s6, 8, v0
	v_mov_b32_e32 v1, 0
	s_mov_b32 s8, s7
	s_waitcnt lgkmcnt(0)
	v_cmp_neq_f64_e64 s[12:13], s[0:1], 0
	v_cmp_neq_f64_e64 s[14:15], s[2:3], 0
	s_ashr_i32 s11, s10, 31
	v_cmp_gt_i64_e32 vcc, s[10:11], v[0:1]
	s_or_b64 s[6:7], s[12:13], s[14:15]
	s_and_b64 s[6:7], vcc, s[6:7]
	s_and_saveexec_b64 s[10:11], s[6:7]
	s_cbranch_execz .LBB85_2
; %bb.1:
	s_load_dwordx4 s[12:15], s[4:5], 0x20
	s_load_dwordx4 s[16:19], s[4:5], 0x38
	s_mov_b32 s9, 0
	s_lshl_b64 s[4:5], s[8:9], 3
	v_lshlrev_b64 v[4:5], 4, v[0:1]
	s_waitcnt lgkmcnt(0)
	s_add_u32 s6, s12, s4
	s_addc_u32 s7, s13, s5
	s_load_dwordx2 s[6:7], s[6:7], 0x0
	s_lshl_b64 s[8:9], s[14:15], 4
	s_waitcnt lgkmcnt(0)
	s_add_u32 s6, s6, s8
	s_addc_u32 s7, s7, s9
	v_mov_b32_e32 v1, s7
	v_add_co_u32_e32 v0, vcc, s6, v4
	v_addc_co_u32_e32 v1, vcc, v1, v5, vcc
	flat_load_dwordx4 v[0:3], v[0:1]
	s_add_u32 s4, s16, s4
	s_addc_u32 s5, s17, s5
	s_load_dwordx2 s[4:5], s[4:5], 0x0
	s_lshl_b64 s[6:7], s[18:19], 4
	s_waitcnt lgkmcnt(0)
	s_add_u32 s4, s4, s6
	s_addc_u32 s5, s5, s7
	v_mov_b32_e32 v6, s5
	v_add_co_u32_e32 v8, vcc, s4, v4
	v_addc_co_u32_e32 v9, vcc, v6, v5, vcc
	flat_load_dwordx4 v[4:7], v[8:9]
	s_waitcnt vmcnt(0)
	v_mul_f64 v[10:11], s[2:3], v[2:3]
	v_mul_f64 v[2:3], s[0:1], v[2:3]
	v_fma_f64 v[10:11], s[0:1], v[0:1], -v[10:11]
	v_fma_f64 v[2:3], s[2:3], v[0:1], v[2:3]
	s_waitcnt lgkmcnt(0)
	v_add_f64 v[0:1], v[4:5], v[10:11]
	v_add_f64 v[2:3], v[2:3], v[6:7]
	flat_store_dwordx4 v[8:9], v[0:3]
.LBB85_2:
	s_endpgm
	.section	.rodata,"a",@progbits
	.p2align	6, 0x0
	.amdhsa_kernel _ZL26rocblas_haxpy_mod_8_kernelILi256E19rocblas_complex_numIdEPKPKS1_PKPS1_EviT0_lT1_llT2_lli
		.amdhsa_group_segment_fixed_size 0
		.amdhsa_private_segment_fixed_size 0
		.amdhsa_kernarg_size 84
		.amdhsa_user_sgpr_count 6
		.amdhsa_user_sgpr_private_segment_buffer 1
		.amdhsa_user_sgpr_dispatch_ptr 0
		.amdhsa_user_sgpr_queue_ptr 0
		.amdhsa_user_sgpr_kernarg_segment_ptr 1
		.amdhsa_user_sgpr_dispatch_id 0
		.amdhsa_user_sgpr_flat_scratch_init 0
		.amdhsa_user_sgpr_private_segment_size 0
		.amdhsa_uses_dynamic_stack 0
		.amdhsa_system_sgpr_private_segment_wavefront_offset 0
		.amdhsa_system_sgpr_workgroup_id_x 1
		.amdhsa_system_sgpr_workgroup_id_y 0
		.amdhsa_system_sgpr_workgroup_id_z 1
		.amdhsa_system_sgpr_workgroup_info 0
		.amdhsa_system_vgpr_workitem_id 0
		.amdhsa_next_free_vgpr 12
		.amdhsa_next_free_sgpr 20
		.amdhsa_reserve_vcc 1
		.amdhsa_reserve_flat_scratch 0
		.amdhsa_float_round_mode_32 0
		.amdhsa_float_round_mode_16_64 0
		.amdhsa_float_denorm_mode_32 3
		.amdhsa_float_denorm_mode_16_64 3
		.amdhsa_dx10_clamp 1
		.amdhsa_ieee_mode 1
		.amdhsa_fp16_overflow 0
		.amdhsa_exception_fp_ieee_invalid_op 0
		.amdhsa_exception_fp_denorm_src 0
		.amdhsa_exception_fp_ieee_div_zero 0
		.amdhsa_exception_fp_ieee_overflow 0
		.amdhsa_exception_fp_ieee_underflow 0
		.amdhsa_exception_fp_ieee_inexact 0
		.amdhsa_exception_int_div_zero 0
	.end_amdhsa_kernel
	.section	.text._ZL26rocblas_haxpy_mod_8_kernelILi256E19rocblas_complex_numIdEPKPKS1_PKPS1_EviT0_lT1_llT2_lli,"axG",@progbits,_ZL26rocblas_haxpy_mod_8_kernelILi256E19rocblas_complex_numIdEPKPKS1_PKPS1_EviT0_lT1_llT2_lli,comdat
.Lfunc_end85:
	.size	_ZL26rocblas_haxpy_mod_8_kernelILi256E19rocblas_complex_numIdEPKPKS1_PKPS1_EviT0_lT1_llT2_lli, .Lfunc_end85-_ZL26rocblas_haxpy_mod_8_kernelILi256E19rocblas_complex_numIdEPKPKS1_PKPS1_EviT0_lT1_llT2_lli
                                        ; -- End function
	.set _ZL26rocblas_haxpy_mod_8_kernelILi256E19rocblas_complex_numIdEPKPKS1_PKPS1_EviT0_lT1_llT2_lli.num_vgpr, 12
	.set _ZL26rocblas_haxpy_mod_8_kernelILi256E19rocblas_complex_numIdEPKPKS1_PKPS1_EviT0_lT1_llT2_lli.num_agpr, 0
	.set _ZL26rocblas_haxpy_mod_8_kernelILi256E19rocblas_complex_numIdEPKPKS1_PKPS1_EviT0_lT1_llT2_lli.numbered_sgpr, 20
	.set _ZL26rocblas_haxpy_mod_8_kernelILi256E19rocblas_complex_numIdEPKPKS1_PKPS1_EviT0_lT1_llT2_lli.num_named_barrier, 0
	.set _ZL26rocblas_haxpy_mod_8_kernelILi256E19rocblas_complex_numIdEPKPKS1_PKPS1_EviT0_lT1_llT2_lli.private_seg_size, 0
	.set _ZL26rocblas_haxpy_mod_8_kernelILi256E19rocblas_complex_numIdEPKPKS1_PKPS1_EviT0_lT1_llT2_lli.uses_vcc, 1
	.set _ZL26rocblas_haxpy_mod_8_kernelILi256E19rocblas_complex_numIdEPKPKS1_PKPS1_EviT0_lT1_llT2_lli.uses_flat_scratch, 0
	.set _ZL26rocblas_haxpy_mod_8_kernelILi256E19rocblas_complex_numIdEPKPKS1_PKPS1_EviT0_lT1_llT2_lli.has_dyn_sized_stack, 0
	.set _ZL26rocblas_haxpy_mod_8_kernelILi256E19rocblas_complex_numIdEPKPKS1_PKPS1_EviT0_lT1_llT2_lli.has_recursion, 0
	.set _ZL26rocblas_haxpy_mod_8_kernelILi256E19rocblas_complex_numIdEPKPKS1_PKPS1_EviT0_lT1_llT2_lli.has_indirect_call, 0
	.section	.AMDGPU.csdata,"",@progbits
; Kernel info:
; codeLenInByte = 284
; TotalNumSgprs: 24
; NumVgprs: 12
; ScratchSize: 0
; MemoryBound: 0
; FloatMode: 240
; IeeeMode: 1
; LDSByteSize: 0 bytes/workgroup (compile time only)
; SGPRBlocks: 2
; VGPRBlocks: 2
; NumSGPRsForWavesPerEU: 24
; NumVGPRsForWavesPerEU: 12
; Occupancy: 10
; WaveLimiterHint : 1
; COMPUTE_PGM_RSRC2:SCRATCH_EN: 0
; COMPUTE_PGM_RSRC2:USER_SGPR: 6
; COMPUTE_PGM_RSRC2:TRAP_HANDLER: 0
; COMPUTE_PGM_RSRC2:TGID_X_EN: 1
; COMPUTE_PGM_RSRC2:TGID_Y_EN: 0
; COMPUTE_PGM_RSRC2:TGID_Z_EN: 1
; COMPUTE_PGM_RSRC2:TIDIG_COMP_CNT: 0
	.section	.text._ZL22rocblas_saxpy_2_kernelILi256E19rocblas_complex_numIdEPKS1_PKS3_PKPS1_EviT1_lT2_llT3_lli,"axG",@progbits,_ZL22rocblas_saxpy_2_kernelILi256E19rocblas_complex_numIdEPKS1_PKS3_PKPS1_EviT1_lT2_llT3_lli,comdat
	.globl	_ZL22rocblas_saxpy_2_kernelILi256E19rocblas_complex_numIdEPKS1_PKS3_PKPS1_EviT1_lT2_llT3_lli ; -- Begin function _ZL22rocblas_saxpy_2_kernelILi256E19rocblas_complex_numIdEPKS1_PKS3_PKPS1_EviT1_lT2_llT3_lli
	.p2align	8
	.type	_ZL22rocblas_saxpy_2_kernelILi256E19rocblas_complex_numIdEPKS1_PKS3_PKPS1_EviT1_lT2_llT3_lli,@function
_ZL22rocblas_saxpy_2_kernelILi256E19rocblas_complex_numIdEPKS1_PKS3_PKPS1_EviT1_lT2_llT3_lli: ; @_ZL22rocblas_saxpy_2_kernelILi256E19rocblas_complex_numIdEPKS1_PKS3_PKPS1_EviT1_lT2_llT3_lli
; %bb.0:
	s_load_dwordx4 s[0:3], s[4:5], 0x8
	s_mov_b32 s8, s7
	s_waitcnt lgkmcnt(0)
	s_mul_i32 s3, s3, s7
	s_mul_hi_u32 s7, s2, s7
	s_add_i32 s3, s7, s3
	s_mul_i32 s2, s2, s8
	s_lshl_b64 s[2:3], s[2:3], 4
	s_add_u32 s10, s0, s2
	s_addc_u32 s11, s1, s3
	s_load_dwordx4 s[0:3], s[10:11], 0x0
	s_waitcnt lgkmcnt(0)
	v_cmp_neq_f64_e64 s[10:11], s[0:1], 0
	v_cmp_neq_f64_e64 s[12:13], s[2:3], 0
	s_or_b64 s[10:11], s[10:11], s[12:13]
	s_andn2_b64 vcc, exec, s[10:11]
	s_cbranch_vccnz .LBB86_5
; %bb.1:
	s_load_dwordx4 s[12:15], s[4:5], 0x18
	s_load_dword s10, s[4:5], 0x0
	s_mov_b32 s9, 0
	s_lshl_b64 s[20:21], s[8:9], 3
	v_lshlrev_b32_e32 v0, 1, v0
	s_waitcnt lgkmcnt(0)
	s_add_u32 s8, s12, s20
	s_addc_u32 s9, s13, s21
	s_load_dwordx2 s[12:13], s[8:9], 0x0
	s_load_dwordx4 s[16:19], s[4:5], 0x30
	s_lshl_b64 s[4:5], s[14:15], 4
	v_lshl_or_b32 v2, s6, 9, v0
	v_mov_b32_e32 v3, 0
	s_waitcnt lgkmcnt(0)
	s_add_u32 s8, s12, s4
	s_addc_u32 s9, s13, s5
	s_add_u32 s4, s16, s20
	s_addc_u32 s5, s17, s21
	s_load_dwordx2 s[4:5], s[4:5], 0x0
	s_lshl_b64 s[6:7], s[18:19], 4
	v_lshlrev_b64 v[0:1], 4, v[2:3]
	s_waitcnt lgkmcnt(0)
	s_add_u32 s11, s4, s6
	s_addc_u32 s12, s5, s7
	s_add_i32 s4, s10, -1
	s_ashr_i32 s5, s4, 31
	v_cmp_gt_i64_e32 vcc, s[4:5], v[2:3]
	s_and_saveexec_b64 s[6:7], vcc
	s_cbranch_execz .LBB86_3
; %bb.2:
	v_mov_b32_e32 v4, s9
	v_add_co_u32_e32 v12, vcc, s8, v0
	v_addc_co_u32_e32 v13, vcc, v4, v1, vcc
	flat_load_dwordx4 v[4:7], v[12:13]
	v_mov_b32_e32 v8, s12
	v_add_co_u32_e32 v14, vcc, s11, v0
	v_addc_co_u32_e32 v15, vcc, v8, v1, vcc
	flat_load_dwordx4 v[8:11], v[14:15]
	s_waitcnt vmcnt(0) lgkmcnt(0)
	v_mul_f64 v[16:17], s[2:3], v[6:7]
	v_mul_f64 v[6:7], s[0:1], v[6:7]
	v_fma_f64 v[16:17], s[0:1], v[4:5], -v[16:17]
	v_fma_f64 v[18:19], s[2:3], v[4:5], v[6:7]
	flat_load_dwordx4 v[4:7], v[14:15] offset:16
	v_add_f64 v[8:9], v[8:9], v[16:17]
	v_add_f64 v[10:11], v[18:19], v[10:11]
	flat_store_dwordx4 v[14:15], v[8:11]
	flat_load_dwordx4 v[8:11], v[12:13] offset:16
	s_waitcnt vmcnt(0) lgkmcnt(0)
	v_mul_f64 v[12:13], s[2:3], v[10:11]
	v_mul_f64 v[10:11], s[0:1], v[10:11]
	v_fma_f64 v[12:13], s[0:1], v[8:9], -v[12:13]
	v_fma_f64 v[8:9], s[2:3], v[8:9], v[10:11]
	v_add_f64 v[4:5], v[4:5], v[12:13]
	v_add_f64 v[6:7], v[8:9], v[6:7]
	flat_store_dwordx4 v[14:15], v[4:7] offset:16
.LBB86_3:
	s_or_b64 exec, exec, s[6:7]
	s_bitcmp1_b32 s10, 0
	v_cmp_eq_u64_e32 vcc, s[4:5], v[2:3]
	s_cselect_b64 s[4:5], -1, 0
	s_and_b64 s[4:5], s[4:5], vcc
	s_and_saveexec_b64 s[6:7], s[4:5]
	s_cbranch_execz .LBB86_5
; %bb.4:
	v_mov_b32_e32 v3, s9
	v_add_co_u32_e32 v2, vcc, s8, v0
	v_addc_co_u32_e32 v3, vcc, v3, v1, vcc
	flat_load_dwordx4 v[2:5], v[2:3]
	v_mov_b32_e32 v6, s12
	v_add_co_u32_e32 v10, vcc, s11, v0
	v_addc_co_u32_e32 v11, vcc, v6, v1, vcc
	flat_load_dwordx4 v[6:9], v[10:11]
	s_waitcnt vmcnt(0) lgkmcnt(0)
	v_mul_f64 v[0:1], s[2:3], v[4:5]
	v_mul_f64 v[4:5], s[0:1], v[4:5]
	v_fma_f64 v[0:1], s[0:1], v[2:3], -v[0:1]
	v_fma_f64 v[2:3], s[2:3], v[2:3], v[4:5]
	v_add_f64 v[0:1], v[6:7], v[0:1]
	v_add_f64 v[2:3], v[2:3], v[8:9]
	flat_store_dwordx4 v[10:11], v[0:3]
.LBB86_5:
	s_endpgm
	.section	.rodata,"a",@progbits
	.p2align	6, 0x0
	.amdhsa_kernel _ZL22rocblas_saxpy_2_kernelILi256E19rocblas_complex_numIdEPKS1_PKS3_PKPS1_EviT1_lT2_llT3_lli
		.amdhsa_group_segment_fixed_size 0
		.amdhsa_private_segment_fixed_size 0
		.amdhsa_kernarg_size 76
		.amdhsa_user_sgpr_count 6
		.amdhsa_user_sgpr_private_segment_buffer 1
		.amdhsa_user_sgpr_dispatch_ptr 0
		.amdhsa_user_sgpr_queue_ptr 0
		.amdhsa_user_sgpr_kernarg_segment_ptr 1
		.amdhsa_user_sgpr_dispatch_id 0
		.amdhsa_user_sgpr_flat_scratch_init 0
		.amdhsa_user_sgpr_private_segment_size 0
		.amdhsa_uses_dynamic_stack 0
		.amdhsa_system_sgpr_private_segment_wavefront_offset 0
		.amdhsa_system_sgpr_workgroup_id_x 1
		.amdhsa_system_sgpr_workgroup_id_y 0
		.amdhsa_system_sgpr_workgroup_id_z 1
		.amdhsa_system_sgpr_workgroup_info 0
		.amdhsa_system_vgpr_workitem_id 0
		.amdhsa_next_free_vgpr 20
		.amdhsa_next_free_sgpr 22
		.amdhsa_reserve_vcc 1
		.amdhsa_reserve_flat_scratch 0
		.amdhsa_float_round_mode_32 0
		.amdhsa_float_round_mode_16_64 0
		.amdhsa_float_denorm_mode_32 3
		.amdhsa_float_denorm_mode_16_64 3
		.amdhsa_dx10_clamp 1
		.amdhsa_ieee_mode 1
		.amdhsa_fp16_overflow 0
		.amdhsa_exception_fp_ieee_invalid_op 0
		.amdhsa_exception_fp_denorm_src 0
		.amdhsa_exception_fp_ieee_div_zero 0
		.amdhsa_exception_fp_ieee_overflow 0
		.amdhsa_exception_fp_ieee_underflow 0
		.amdhsa_exception_fp_ieee_inexact 0
		.amdhsa_exception_int_div_zero 0
	.end_amdhsa_kernel
	.section	.text._ZL22rocblas_saxpy_2_kernelILi256E19rocblas_complex_numIdEPKS1_PKS3_PKPS1_EviT1_lT2_llT3_lli,"axG",@progbits,_ZL22rocblas_saxpy_2_kernelILi256E19rocblas_complex_numIdEPKS1_PKS3_PKPS1_EviT1_lT2_llT3_lli,comdat
.Lfunc_end86:
	.size	_ZL22rocblas_saxpy_2_kernelILi256E19rocblas_complex_numIdEPKS1_PKS3_PKPS1_EviT1_lT2_llT3_lli, .Lfunc_end86-_ZL22rocblas_saxpy_2_kernelILi256E19rocblas_complex_numIdEPKS1_PKS3_PKPS1_EviT1_lT2_llT3_lli
                                        ; -- End function
	.set _ZL22rocblas_saxpy_2_kernelILi256E19rocblas_complex_numIdEPKS1_PKS3_PKPS1_EviT1_lT2_llT3_lli.num_vgpr, 20
	.set _ZL22rocblas_saxpy_2_kernelILi256E19rocblas_complex_numIdEPKS1_PKS3_PKPS1_EviT1_lT2_llT3_lli.num_agpr, 0
	.set _ZL22rocblas_saxpy_2_kernelILi256E19rocblas_complex_numIdEPKS1_PKS3_PKPS1_EviT1_lT2_llT3_lli.numbered_sgpr, 22
	.set _ZL22rocblas_saxpy_2_kernelILi256E19rocblas_complex_numIdEPKS1_PKS3_PKPS1_EviT1_lT2_llT3_lli.num_named_barrier, 0
	.set _ZL22rocblas_saxpy_2_kernelILi256E19rocblas_complex_numIdEPKS1_PKS3_PKPS1_EviT1_lT2_llT3_lli.private_seg_size, 0
	.set _ZL22rocblas_saxpy_2_kernelILi256E19rocblas_complex_numIdEPKS1_PKS3_PKPS1_EviT1_lT2_llT3_lli.uses_vcc, 1
	.set _ZL22rocblas_saxpy_2_kernelILi256E19rocblas_complex_numIdEPKS1_PKS3_PKPS1_EviT1_lT2_llT3_lli.uses_flat_scratch, 0
	.set _ZL22rocblas_saxpy_2_kernelILi256E19rocblas_complex_numIdEPKS1_PKS3_PKPS1_EviT1_lT2_llT3_lli.has_dyn_sized_stack, 0
	.set _ZL22rocblas_saxpy_2_kernelILi256E19rocblas_complex_numIdEPKS1_PKS3_PKPS1_EviT1_lT2_llT3_lli.has_recursion, 0
	.set _ZL22rocblas_saxpy_2_kernelILi256E19rocblas_complex_numIdEPKS1_PKS3_PKPS1_EviT1_lT2_llT3_lli.has_indirect_call, 0
	.section	.AMDGPU.csdata,"",@progbits
; Kernel info:
; codeLenInByte = 536
; TotalNumSgprs: 26
; NumVgprs: 20
; ScratchSize: 0
; MemoryBound: 0
; FloatMode: 240
; IeeeMode: 1
; LDSByteSize: 0 bytes/workgroup (compile time only)
; SGPRBlocks: 3
; VGPRBlocks: 4
; NumSGPRsForWavesPerEU: 26
; NumVGPRsForWavesPerEU: 20
; Occupancy: 10
; WaveLimiterHint : 1
; COMPUTE_PGM_RSRC2:SCRATCH_EN: 0
; COMPUTE_PGM_RSRC2:USER_SGPR: 6
; COMPUTE_PGM_RSRC2:TRAP_HANDLER: 0
; COMPUTE_PGM_RSRC2:TGID_X_EN: 1
; COMPUTE_PGM_RSRC2:TGID_Y_EN: 0
; COMPUTE_PGM_RSRC2:TGID_Z_EN: 1
; COMPUTE_PGM_RSRC2:TIDIG_COMP_CNT: 0
	.section	.text._ZL22rocblas_saxpy_2_kernelILi256E19rocblas_complex_numIdES1_PKPKS1_PKPS1_EviT1_lT2_llT3_lli,"axG",@progbits,_ZL22rocblas_saxpy_2_kernelILi256E19rocblas_complex_numIdES1_PKPKS1_PKPS1_EviT1_lT2_llT3_lli,comdat
	.globl	_ZL22rocblas_saxpy_2_kernelILi256E19rocblas_complex_numIdES1_PKPKS1_PKPS1_EviT1_lT2_llT3_lli ; -- Begin function _ZL22rocblas_saxpy_2_kernelILi256E19rocblas_complex_numIdES1_PKPKS1_PKPS1_EviT1_lT2_llT3_lli
	.p2align	8
	.type	_ZL22rocblas_saxpy_2_kernelILi256E19rocblas_complex_numIdES1_PKPKS1_PKPS1_EviT1_lT2_llT3_lli,@function
_ZL22rocblas_saxpy_2_kernelILi256E19rocblas_complex_numIdES1_PKPKS1_PKPS1_EviT1_lT2_llT3_lli: ; @_ZL22rocblas_saxpy_2_kernelILi256E19rocblas_complex_numIdES1_PKPKS1_PKPS1_EviT1_lT2_llT3_lli
; %bb.0:
	s_load_dwordx4 s[0:3], s[4:5], 0x8
	s_waitcnt lgkmcnt(0)
	v_cmp_neq_f64_e64 s[10:11], s[0:1], 0
	v_cmp_neq_f64_e64 s[12:13], s[2:3], 0
	s_or_b64 s[10:11], s[10:11], s[12:13]
	s_andn2_b64 vcc, exec, s[10:11]
	s_cbranch_vccnz .LBB87_5
; %bb.1:
	s_load_dwordx4 s[12:15], s[4:5], 0x20
	s_load_dword s10, s[4:5], 0x0
	s_mov_b32 s8, s7
	s_mov_b32 s9, 0
	s_lshl_b64 s[20:21], s[8:9], 3
	s_waitcnt lgkmcnt(0)
	s_add_u32 s8, s12, s20
	s_addc_u32 s9, s13, s21
	s_load_dwordx2 s[12:13], s[8:9], 0x0
	s_load_dwordx4 s[16:19], s[4:5], 0x38
	s_lshl_b64 s[4:5], s[14:15], 4
	v_lshlrev_b32_e32 v0, 1, v0
	v_lshl_or_b32 v2, s6, 9, v0
	s_waitcnt lgkmcnt(0)
	s_add_u32 s8, s12, s4
	s_addc_u32 s9, s13, s5
	s_add_u32 s4, s16, s20
	s_addc_u32 s5, s17, s21
	s_load_dwordx2 s[4:5], s[4:5], 0x0
	s_lshl_b64 s[6:7], s[18:19], 4
	v_mov_b32_e32 v3, 0
	v_lshlrev_b64 v[0:1], 4, v[2:3]
	s_waitcnt lgkmcnt(0)
	s_add_u32 s11, s4, s6
	s_addc_u32 s12, s5, s7
	s_add_i32 s4, s10, -1
	s_ashr_i32 s5, s4, 31
	v_cmp_gt_i64_e32 vcc, s[4:5], v[2:3]
	s_and_saveexec_b64 s[6:7], vcc
	s_cbranch_execz .LBB87_3
; %bb.2:
	v_mov_b32_e32 v4, s9
	v_add_co_u32_e32 v12, vcc, s8, v0
	v_addc_co_u32_e32 v13, vcc, v4, v1, vcc
	flat_load_dwordx4 v[4:7], v[12:13]
	v_mov_b32_e32 v8, s12
	v_add_co_u32_e32 v14, vcc, s11, v0
	v_addc_co_u32_e32 v15, vcc, v8, v1, vcc
	flat_load_dwordx4 v[8:11], v[14:15]
	s_waitcnt vmcnt(0) lgkmcnt(0)
	v_mul_f64 v[16:17], s[2:3], v[6:7]
	v_mul_f64 v[6:7], s[0:1], v[6:7]
	v_fma_f64 v[16:17], s[0:1], v[4:5], -v[16:17]
	v_fma_f64 v[18:19], s[2:3], v[4:5], v[6:7]
	flat_load_dwordx4 v[4:7], v[14:15] offset:16
	v_add_f64 v[8:9], v[8:9], v[16:17]
	v_add_f64 v[10:11], v[18:19], v[10:11]
	flat_store_dwordx4 v[14:15], v[8:11]
	flat_load_dwordx4 v[8:11], v[12:13] offset:16
	s_waitcnt vmcnt(0) lgkmcnt(0)
	v_mul_f64 v[12:13], s[2:3], v[10:11]
	v_mul_f64 v[10:11], s[0:1], v[10:11]
	v_fma_f64 v[12:13], s[0:1], v[8:9], -v[12:13]
	v_fma_f64 v[8:9], s[2:3], v[8:9], v[10:11]
	v_add_f64 v[4:5], v[4:5], v[12:13]
	v_add_f64 v[6:7], v[8:9], v[6:7]
	flat_store_dwordx4 v[14:15], v[4:7] offset:16
.LBB87_3:
	s_or_b64 exec, exec, s[6:7]
	s_bitcmp1_b32 s10, 0
	v_cmp_eq_u64_e32 vcc, s[4:5], v[2:3]
	s_cselect_b64 s[4:5], -1, 0
	s_and_b64 s[4:5], s[4:5], vcc
	s_and_saveexec_b64 s[6:7], s[4:5]
	s_cbranch_execz .LBB87_5
; %bb.4:
	v_mov_b32_e32 v3, s9
	v_add_co_u32_e32 v2, vcc, s8, v0
	v_addc_co_u32_e32 v3, vcc, v3, v1, vcc
	flat_load_dwordx4 v[2:5], v[2:3]
	v_mov_b32_e32 v6, s12
	v_add_co_u32_e32 v10, vcc, s11, v0
	v_addc_co_u32_e32 v11, vcc, v6, v1, vcc
	flat_load_dwordx4 v[6:9], v[10:11]
	s_waitcnt vmcnt(0) lgkmcnt(0)
	v_mul_f64 v[0:1], s[2:3], v[4:5]
	v_mul_f64 v[4:5], s[0:1], v[4:5]
	v_fma_f64 v[0:1], s[0:1], v[2:3], -v[0:1]
	v_fma_f64 v[2:3], s[2:3], v[2:3], v[4:5]
	v_add_f64 v[0:1], v[6:7], v[0:1]
	v_add_f64 v[2:3], v[2:3], v[8:9]
	flat_store_dwordx4 v[10:11], v[0:3]
.LBB87_5:
	s_endpgm
	.section	.rodata,"a",@progbits
	.p2align	6, 0x0
	.amdhsa_kernel _ZL22rocblas_saxpy_2_kernelILi256E19rocblas_complex_numIdES1_PKPKS1_PKPS1_EviT1_lT2_llT3_lli
		.amdhsa_group_segment_fixed_size 0
		.amdhsa_private_segment_fixed_size 0
		.amdhsa_kernarg_size 84
		.amdhsa_user_sgpr_count 6
		.amdhsa_user_sgpr_private_segment_buffer 1
		.amdhsa_user_sgpr_dispatch_ptr 0
		.amdhsa_user_sgpr_queue_ptr 0
		.amdhsa_user_sgpr_kernarg_segment_ptr 1
		.amdhsa_user_sgpr_dispatch_id 0
		.amdhsa_user_sgpr_flat_scratch_init 0
		.amdhsa_user_sgpr_private_segment_size 0
		.amdhsa_uses_dynamic_stack 0
		.amdhsa_system_sgpr_private_segment_wavefront_offset 0
		.amdhsa_system_sgpr_workgroup_id_x 1
		.amdhsa_system_sgpr_workgroup_id_y 0
		.amdhsa_system_sgpr_workgroup_id_z 1
		.amdhsa_system_sgpr_workgroup_info 0
		.amdhsa_system_vgpr_workitem_id 0
		.amdhsa_next_free_vgpr 20
		.amdhsa_next_free_sgpr 22
		.amdhsa_reserve_vcc 1
		.amdhsa_reserve_flat_scratch 0
		.amdhsa_float_round_mode_32 0
		.amdhsa_float_round_mode_16_64 0
		.amdhsa_float_denorm_mode_32 3
		.amdhsa_float_denorm_mode_16_64 3
		.amdhsa_dx10_clamp 1
		.amdhsa_ieee_mode 1
		.amdhsa_fp16_overflow 0
		.amdhsa_exception_fp_ieee_invalid_op 0
		.amdhsa_exception_fp_denorm_src 0
		.amdhsa_exception_fp_ieee_div_zero 0
		.amdhsa_exception_fp_ieee_overflow 0
		.amdhsa_exception_fp_ieee_underflow 0
		.amdhsa_exception_fp_ieee_inexact 0
		.amdhsa_exception_int_div_zero 0
	.end_amdhsa_kernel
	.section	.text._ZL22rocblas_saxpy_2_kernelILi256E19rocblas_complex_numIdES1_PKPKS1_PKPS1_EviT1_lT2_llT3_lli,"axG",@progbits,_ZL22rocblas_saxpy_2_kernelILi256E19rocblas_complex_numIdES1_PKPKS1_PKPS1_EviT1_lT2_llT3_lli,comdat
.Lfunc_end87:
	.size	_ZL22rocblas_saxpy_2_kernelILi256E19rocblas_complex_numIdES1_PKPKS1_PKPS1_EviT1_lT2_llT3_lli, .Lfunc_end87-_ZL22rocblas_saxpy_2_kernelILi256E19rocblas_complex_numIdES1_PKPKS1_PKPS1_EviT1_lT2_llT3_lli
                                        ; -- End function
	.set _ZL22rocblas_saxpy_2_kernelILi256E19rocblas_complex_numIdES1_PKPKS1_PKPS1_EviT1_lT2_llT3_lli.num_vgpr, 20
	.set _ZL22rocblas_saxpy_2_kernelILi256E19rocblas_complex_numIdES1_PKPKS1_PKPS1_EviT1_lT2_llT3_lli.num_agpr, 0
	.set _ZL22rocblas_saxpy_2_kernelILi256E19rocblas_complex_numIdES1_PKPKS1_PKPS1_EviT1_lT2_llT3_lli.numbered_sgpr, 22
	.set _ZL22rocblas_saxpy_2_kernelILi256E19rocblas_complex_numIdES1_PKPKS1_PKPS1_EviT1_lT2_llT3_lli.num_named_barrier, 0
	.set _ZL22rocblas_saxpy_2_kernelILi256E19rocblas_complex_numIdES1_PKPKS1_PKPS1_EviT1_lT2_llT3_lli.private_seg_size, 0
	.set _ZL22rocblas_saxpy_2_kernelILi256E19rocblas_complex_numIdES1_PKPKS1_PKPS1_EviT1_lT2_llT3_lli.uses_vcc, 1
	.set _ZL22rocblas_saxpy_2_kernelILi256E19rocblas_complex_numIdES1_PKPKS1_PKPS1_EviT1_lT2_llT3_lli.uses_flat_scratch, 0
	.set _ZL22rocblas_saxpy_2_kernelILi256E19rocblas_complex_numIdES1_PKPKS1_PKPS1_EviT1_lT2_llT3_lli.has_dyn_sized_stack, 0
	.set _ZL22rocblas_saxpy_2_kernelILi256E19rocblas_complex_numIdES1_PKPKS1_PKPS1_EviT1_lT2_llT3_lli.has_recursion, 0
	.set _ZL22rocblas_saxpy_2_kernelILi256E19rocblas_complex_numIdES1_PKPKS1_PKPS1_EviT1_lT2_llT3_lli.has_indirect_call, 0
	.section	.AMDGPU.csdata,"",@progbits
; Kernel info:
; codeLenInByte = 496
; TotalNumSgprs: 26
; NumVgprs: 20
; ScratchSize: 0
; MemoryBound: 0
; FloatMode: 240
; IeeeMode: 1
; LDSByteSize: 0 bytes/workgroup (compile time only)
; SGPRBlocks: 3
; VGPRBlocks: 4
; NumSGPRsForWavesPerEU: 26
; NumVGPRsForWavesPerEU: 20
; Occupancy: 10
; WaveLimiterHint : 1
; COMPUTE_PGM_RSRC2:SCRATCH_EN: 0
; COMPUTE_PGM_RSRC2:USER_SGPR: 6
; COMPUTE_PGM_RSRC2:TRAP_HANDLER: 0
; COMPUTE_PGM_RSRC2:TGID_X_EN: 1
; COMPUTE_PGM_RSRC2:TGID_Y_EN: 0
; COMPUTE_PGM_RSRC2:TGID_Z_EN: 1
; COMPUTE_PGM_RSRC2:TIDIG_COMP_CNT: 0
	.section	.text._ZL27rocblas_axpy_kernel_batchedIiLi128ELi8E19rocblas_complex_numIdEPKS1_PKS3_PKPS1_EviT3_lT4_lT_lT5_lSB_li,"axG",@progbits,_ZL27rocblas_axpy_kernel_batchedIiLi128ELi8E19rocblas_complex_numIdEPKS1_PKS3_PKPS1_EviT3_lT4_lT_lT5_lSB_li,comdat
	.globl	_ZL27rocblas_axpy_kernel_batchedIiLi128ELi8E19rocblas_complex_numIdEPKS1_PKS3_PKPS1_EviT3_lT4_lT_lT5_lSB_li ; -- Begin function _ZL27rocblas_axpy_kernel_batchedIiLi128ELi8E19rocblas_complex_numIdEPKS1_PKS3_PKPS1_EviT3_lT4_lT_lT5_lSB_li
	.p2align	8
	.type	_ZL27rocblas_axpy_kernel_batchedIiLi128ELi8E19rocblas_complex_numIdEPKS1_PKS3_PKPS1_EviT3_lT4_lT_lT5_lSB_li,@function
_ZL27rocblas_axpy_kernel_batchedIiLi128ELi8E19rocblas_complex_numIdEPKS1_PKS3_PKPS1_EviT3_lT4_lT_lT5_lSB_li: ; @_ZL27rocblas_axpy_kernel_batchedIiLi128ELi8E19rocblas_complex_numIdEPKS1_PKS3_PKPS1_EviT3_lT4_lT_lT5_lSB_li
; %bb.0:
	s_load_dword s0, s[4:5], 0x0
	v_lshl_add_u32 v2, s6, 7, v0
	v_mov_b32_e32 v3, 0
	s_waitcnt lgkmcnt(0)
	s_ashr_i32 s1, s0, 31
	v_cmp_gt_i64_e32 vcc, s[0:1], v[2:3]
	s_and_saveexec_b64 s[0:1], vcc
	s_cbranch_execz .LBB88_13
; %bb.1:
	s_load_dword s0, s[4:5], 0x28
	s_load_dwordx8 s[8:15], s[4:5], 0x8
	s_load_dwordx4 s[16:19], s[4:5], 0x38
	s_load_dword s2, s[4:5], 0x48
	s_load_dword s6, s[4:5], 0x58
	s_waitcnt lgkmcnt(0)
	s_ashr_i32 s3, s0, 31
	v_mad_u64_u32 v[6:7], s[0:1], s0, v2, 0
	v_mad_u64_u32 v[4:5], s[0:1], s2, v2, 0
	v_mov_b32_e32 v0, v7
	s_ashr_i32 s4, s2, 31
	v_mad_u64_u32 v[7:8], s[0:1], s3, v2, v[0:1]
	v_mov_b32_e32 v0, v5
	v_mad_u64_u32 v[2:3], s[0:1], s4, v2, v[0:1]
	v_lshlrev_b32_e32 v0, 2, v1
	v_lshl_add_u32 v8, s7, 5, v0
	v_mov_b32_e32 v5, v2
	v_cmp_gt_u32_e32 vcc, s6, v8
	s_and_saveexec_b64 s[2:3], vcc
	s_cbranch_execz .LBB88_4
; %bb.2:
	v_mad_u64_u32 v[0:1], s[0:1], s10, v8, 0
	v_mad_u64_u32 v[1:2], s[0:1], s11, v8, v[1:2]
	v_mov_b32_e32 v2, s9
	v_lshlrev_b64 v[0:1], 4, v[0:1]
	v_add_co_u32_e32 v0, vcc, s8, v0
	v_addc_co_u32_e32 v1, vcc, v2, v1, vcc
	global_load_dwordx4 v[0:3], v[0:1], off
	s_waitcnt vmcnt(0)
	v_cmp_neq_f64_e32 vcc, 0, v[0:1]
	v_cmp_neq_f64_e64 s[0:1], 0, v[2:3]
	s_or_b64 s[0:1], vcc, s[0:1]
	s_and_b64 exec, exec, s[0:1]
	s_cbranch_execz .LBB88_4
; %bb.3:
	v_mov_b32_e32 v9, 0
	v_lshlrev_b64 v[9:10], 3, v[8:9]
	v_mov_b32_e32 v12, s13
	v_add_co_u32_e32 v11, vcc, s12, v9
	v_addc_co_u32_e32 v12, vcc, v12, v10, vcc
	global_load_dwordx2 v[11:12], v[11:12], off
	v_mov_b32_e32 v15, s17
	v_add_co_u32_e32 v9, vcc, s16, v9
	s_lshl_b64 s[0:1], s[14:15], 4
	v_addc_co_u32_e32 v10, vcc, v15, v10, vcc
	v_lshlrev_b64 v[13:14], 4, v[6:7]
	v_mov_b32_e32 v17, s1
	global_load_dwordx2 v[15:16], v[9:10], off
	s_waitcnt vmcnt(1)
	v_add_co_u32_e32 v9, vcc, s0, v11
	v_addc_co_u32_e32 v10, vcc, v12, v17, vcc
	v_add_co_u32_e32 v9, vcc, v9, v13
	v_addc_co_u32_e32 v10, vcc, v10, v14, vcc
	flat_load_dwordx4 v[9:12], v[9:10]
	s_lshl_b64 s[0:1], s[18:19], 4
	v_lshlrev_b64 v[13:14], 4, v[4:5]
	v_mov_b32_e32 v17, s1
	s_waitcnt vmcnt(0)
	v_add_co_u32_e32 v15, vcc, s0, v15
	v_addc_co_u32_e32 v16, vcc, v16, v17, vcc
	v_add_co_u32_e32 v13, vcc, v15, v13
	v_addc_co_u32_e32 v14, vcc, v16, v14, vcc
	s_waitcnt lgkmcnt(0)
	v_mul_f64 v[15:16], v[2:3], v[11:12]
	v_mul_f64 v[11:12], v[0:1], v[11:12]
	v_fma_f64 v[15:16], v[0:1], v[9:10], -v[15:16]
	v_fma_f64 v[9:10], v[2:3], v[9:10], v[11:12]
	flat_load_dwordx4 v[0:3], v[13:14]
	s_waitcnt vmcnt(0) lgkmcnt(0)
	v_add_f64 v[0:1], v[0:1], v[15:16]
	v_add_f64 v[2:3], v[9:10], v[2:3]
	flat_store_dwordx4 v[13:14], v[0:3]
.LBB88_4:
	s_or_b64 exec, exec, s[2:3]
	v_or_b32_e32 v0, 1, v8
	v_cmp_gt_u32_e32 vcc, s6, v0
	s_and_saveexec_b64 s[2:3], vcc
	s_cbranch_execz .LBB88_7
; %bb.5:
	v_mad_u64_u32 v[1:2], s[0:1], s10, v0, 0
	v_mad_u64_u32 v[2:3], s[0:1], s11, v0, v[2:3]
	v_mov_b32_e32 v3, s9
	v_lshlrev_b64 v[0:1], 4, v[1:2]
	v_add_co_u32_e32 v0, vcc, s8, v0
	v_addc_co_u32_e32 v1, vcc, v3, v1, vcc
	global_load_dwordx4 v[0:3], v[0:1], off
	s_waitcnt vmcnt(0)
	v_cmp_neq_f64_e32 vcc, 0, v[0:1]
	v_cmp_neq_f64_e64 s[0:1], 0, v[2:3]
	s_or_b64 s[0:1], vcc, s[0:1]
	s_and_b64 exec, exec, s[0:1]
	s_cbranch_execz .LBB88_7
; %bb.6:
	v_mov_b32_e32 v9, 0
	v_lshlrev_b64 v[9:10], 3, v[8:9]
	v_mov_b32_e32 v12, s13
	v_add_co_u32_e32 v11, vcc, s12, v9
	v_addc_co_u32_e32 v12, vcc, v12, v10, vcc
	global_load_dwordx2 v[11:12], v[11:12], off offset:8
	v_mov_b32_e32 v15, s17
	v_add_co_u32_e32 v9, vcc, s16, v9
	s_lshl_b64 s[0:1], s[14:15], 4
	v_addc_co_u32_e32 v10, vcc, v15, v10, vcc
	v_lshlrev_b64 v[13:14], 4, v[6:7]
	v_mov_b32_e32 v17, s1
	global_load_dwordx2 v[15:16], v[9:10], off offset:8
	s_waitcnt vmcnt(0)
	v_add_co_u32_e32 v9, vcc, s0, v11
	v_addc_co_u32_e32 v10, vcc, v12, v17, vcc
	v_add_co_u32_e32 v9, vcc, v9, v13
	v_addc_co_u32_e32 v10, vcc, v10, v14, vcc
	flat_load_dwordx4 v[9:12], v[9:10]
	s_lshl_b64 s[0:1], s[18:19], 4
	v_lshlrev_b64 v[13:14], 4, v[4:5]
	v_mov_b32_e32 v17, s1
	v_add_co_u32_e32 v15, vcc, s0, v15
	v_addc_co_u32_e32 v16, vcc, v16, v17, vcc
	v_add_co_u32_e32 v13, vcc, v15, v13
	v_addc_co_u32_e32 v14, vcc, v16, v14, vcc
	s_waitcnt vmcnt(0) lgkmcnt(0)
	v_mul_f64 v[15:16], v[2:3], v[11:12]
	v_mul_f64 v[11:12], v[0:1], v[11:12]
	v_fma_f64 v[15:16], v[0:1], v[9:10], -v[15:16]
	v_fma_f64 v[9:10], v[2:3], v[9:10], v[11:12]
	flat_load_dwordx4 v[0:3], v[13:14]
	s_waitcnt vmcnt(0) lgkmcnt(0)
	v_add_f64 v[0:1], v[0:1], v[15:16]
	v_add_f64 v[2:3], v[9:10], v[2:3]
	flat_store_dwordx4 v[13:14], v[0:3]
.LBB88_7:
	s_or_b64 exec, exec, s[2:3]
	v_or_b32_e32 v0, 2, v8
	v_cmp_gt_u32_e32 vcc, s6, v0
	s_and_saveexec_b64 s[2:3], vcc
	s_cbranch_execz .LBB88_10
; %bb.8:
	v_mad_u64_u32 v[1:2], s[0:1], s10, v0, 0
	v_mad_u64_u32 v[2:3], s[0:1], s11, v0, v[2:3]
	v_mov_b32_e32 v3, s9
	v_lshlrev_b64 v[0:1], 4, v[1:2]
	v_add_co_u32_e32 v0, vcc, s8, v0
	v_addc_co_u32_e32 v1, vcc, v3, v1, vcc
	global_load_dwordx4 v[0:3], v[0:1], off
	s_waitcnt vmcnt(0)
	v_cmp_neq_f64_e32 vcc, 0, v[0:1]
	v_cmp_neq_f64_e64 s[0:1], 0, v[2:3]
	s_or_b64 s[0:1], vcc, s[0:1]
	s_and_b64 exec, exec, s[0:1]
	s_cbranch_execz .LBB88_10
; %bb.9:
	v_mov_b32_e32 v9, 0
	v_lshlrev_b64 v[9:10], 3, v[8:9]
	v_mov_b32_e32 v12, s13
	v_add_co_u32_e32 v11, vcc, s12, v9
	v_addc_co_u32_e32 v12, vcc, v12, v10, vcc
	global_load_dwordx2 v[11:12], v[11:12], off offset:16
	v_mov_b32_e32 v15, s17
	v_add_co_u32_e32 v9, vcc, s16, v9
	s_lshl_b64 s[0:1], s[14:15], 4
	v_addc_co_u32_e32 v10, vcc, v15, v10, vcc
	v_lshlrev_b64 v[13:14], 4, v[6:7]
	v_mov_b32_e32 v17, s1
	global_load_dwordx2 v[15:16], v[9:10], off offset:16
	s_waitcnt vmcnt(0)
	v_add_co_u32_e32 v9, vcc, s0, v11
	v_addc_co_u32_e32 v10, vcc, v12, v17, vcc
	v_add_co_u32_e32 v9, vcc, v9, v13
	v_addc_co_u32_e32 v10, vcc, v10, v14, vcc
	flat_load_dwordx4 v[9:12], v[9:10]
	s_lshl_b64 s[0:1], s[18:19], 4
	v_lshlrev_b64 v[13:14], 4, v[4:5]
	v_mov_b32_e32 v17, s1
	v_add_co_u32_e32 v15, vcc, s0, v15
	v_addc_co_u32_e32 v16, vcc, v16, v17, vcc
	v_add_co_u32_e32 v13, vcc, v15, v13
	v_addc_co_u32_e32 v14, vcc, v16, v14, vcc
	s_waitcnt vmcnt(0) lgkmcnt(0)
	v_mul_f64 v[15:16], v[2:3], v[11:12]
	v_mul_f64 v[11:12], v[0:1], v[11:12]
	v_fma_f64 v[15:16], v[0:1], v[9:10], -v[15:16]
	v_fma_f64 v[9:10], v[2:3], v[9:10], v[11:12]
	flat_load_dwordx4 v[0:3], v[13:14]
	s_waitcnt vmcnt(0) lgkmcnt(0)
	v_add_f64 v[0:1], v[0:1], v[15:16]
	v_add_f64 v[2:3], v[9:10], v[2:3]
	flat_store_dwordx4 v[13:14], v[0:3]
.LBB88_10:
	s_or_b64 exec, exec, s[2:3]
	v_or_b32_e32 v0, 3, v8
	v_cmp_gt_u32_e32 vcc, s6, v0
	s_and_b64 exec, exec, vcc
	s_cbranch_execz .LBB88_13
; %bb.11:
	v_mad_u64_u32 v[1:2], s[0:1], s10, v0, 0
	v_mad_u64_u32 v[2:3], s[0:1], s11, v0, v[2:3]
	v_mov_b32_e32 v3, s9
	v_lshlrev_b64 v[0:1], 4, v[1:2]
	v_add_co_u32_e32 v0, vcc, s8, v0
	v_addc_co_u32_e32 v1, vcc, v3, v1, vcc
	global_load_dwordx4 v[0:3], v[0:1], off
	s_waitcnt vmcnt(0)
	v_cmp_neq_f64_e32 vcc, 0, v[0:1]
	v_cmp_neq_f64_e64 s[0:1], 0, v[2:3]
	s_or_b64 s[0:1], vcc, s[0:1]
	s_and_b64 exec, exec, s[0:1]
	s_cbranch_execz .LBB88_13
; %bb.12:
	v_mov_b32_e32 v9, 0
	v_lshlrev_b64 v[8:9], 3, v[8:9]
	v_mov_b32_e32 v11, s13
	v_add_co_u32_e32 v10, vcc, s12, v8
	v_addc_co_u32_e32 v11, vcc, v11, v9, vcc
	global_load_dwordx2 v[10:11], v[10:11], off offset:24
	v_mov_b32_e32 v12, s17
	v_add_co_u32_e32 v8, vcc, s16, v8
	v_addc_co_u32_e32 v9, vcc, v12, v9, vcc
	global_load_dwordx2 v[12:13], v[8:9], off offset:24
	s_lshl_b64 s[0:1], s[14:15], 4
	v_lshlrev_b64 v[6:7], 4, v[6:7]
	v_mov_b32_e32 v8, s1
	v_lshlrev_b64 v[4:5], 4, v[4:5]
	s_waitcnt vmcnt(0)
	v_add_co_u32_e32 v9, vcc, s0, v10
	v_addc_co_u32_e32 v8, vcc, v11, v8, vcc
	v_add_co_u32_e32 v6, vcc, v9, v6
	v_addc_co_u32_e32 v7, vcc, v8, v7, vcc
	flat_load_dwordx4 v[6:9], v[6:7]
	s_lshl_b64 s[0:1], s[18:19], 4
	v_mov_b32_e32 v10, s1
	v_add_co_u32_e32 v11, vcc, s0, v12
	v_addc_co_u32_e32 v10, vcc, v13, v10, vcc
	v_add_co_u32_e32 v4, vcc, v11, v4
	v_addc_co_u32_e32 v5, vcc, v10, v5, vcc
	flat_load_dwordx4 v[10:13], v[4:5]
	s_waitcnt vmcnt(0) lgkmcnt(0)
	v_mul_f64 v[14:15], v[2:3], v[8:9]
	v_mul_f64 v[8:9], v[0:1], v[8:9]
	v_fma_f64 v[0:1], v[0:1], v[6:7], -v[14:15]
	v_fma_f64 v[2:3], v[2:3], v[6:7], v[8:9]
	v_add_f64 v[0:1], v[10:11], v[0:1]
	v_add_f64 v[2:3], v[2:3], v[12:13]
	flat_store_dwordx4 v[4:5], v[0:3]
.LBB88_13:
	s_endpgm
	.section	.rodata,"a",@progbits
	.p2align	6, 0x0
	.amdhsa_kernel _ZL27rocblas_axpy_kernel_batchedIiLi128ELi8E19rocblas_complex_numIdEPKS1_PKS3_PKPS1_EviT3_lT4_lT_lT5_lSB_li
		.amdhsa_group_segment_fixed_size 0
		.amdhsa_private_segment_fixed_size 0
		.amdhsa_kernarg_size 92
		.amdhsa_user_sgpr_count 6
		.amdhsa_user_sgpr_private_segment_buffer 1
		.amdhsa_user_sgpr_dispatch_ptr 0
		.amdhsa_user_sgpr_queue_ptr 0
		.amdhsa_user_sgpr_kernarg_segment_ptr 1
		.amdhsa_user_sgpr_dispatch_id 0
		.amdhsa_user_sgpr_flat_scratch_init 0
		.amdhsa_user_sgpr_private_segment_size 0
		.amdhsa_uses_dynamic_stack 0
		.amdhsa_system_sgpr_private_segment_wavefront_offset 0
		.amdhsa_system_sgpr_workgroup_id_x 1
		.amdhsa_system_sgpr_workgroup_id_y 0
		.amdhsa_system_sgpr_workgroup_id_z 1
		.amdhsa_system_sgpr_workgroup_info 0
		.amdhsa_system_vgpr_workitem_id 1
		.amdhsa_next_free_vgpr 18
		.amdhsa_next_free_sgpr 20
		.amdhsa_reserve_vcc 1
		.amdhsa_reserve_flat_scratch 0
		.amdhsa_float_round_mode_32 0
		.amdhsa_float_round_mode_16_64 0
		.amdhsa_float_denorm_mode_32 3
		.amdhsa_float_denorm_mode_16_64 3
		.amdhsa_dx10_clamp 1
		.amdhsa_ieee_mode 1
		.amdhsa_fp16_overflow 0
		.amdhsa_exception_fp_ieee_invalid_op 0
		.amdhsa_exception_fp_denorm_src 0
		.amdhsa_exception_fp_ieee_div_zero 0
		.amdhsa_exception_fp_ieee_overflow 0
		.amdhsa_exception_fp_ieee_underflow 0
		.amdhsa_exception_fp_ieee_inexact 0
		.amdhsa_exception_int_div_zero 0
	.end_amdhsa_kernel
	.section	.text._ZL27rocblas_axpy_kernel_batchedIiLi128ELi8E19rocblas_complex_numIdEPKS1_PKS3_PKPS1_EviT3_lT4_lT_lT5_lSB_li,"axG",@progbits,_ZL27rocblas_axpy_kernel_batchedIiLi128ELi8E19rocblas_complex_numIdEPKS1_PKS3_PKPS1_EviT3_lT4_lT_lT5_lSB_li,comdat
.Lfunc_end88:
	.size	_ZL27rocblas_axpy_kernel_batchedIiLi128ELi8E19rocblas_complex_numIdEPKS1_PKS3_PKPS1_EviT3_lT4_lT_lT5_lSB_li, .Lfunc_end88-_ZL27rocblas_axpy_kernel_batchedIiLi128ELi8E19rocblas_complex_numIdEPKS1_PKS3_PKPS1_EviT3_lT4_lT_lT5_lSB_li
                                        ; -- End function
	.set _ZL27rocblas_axpy_kernel_batchedIiLi128ELi8E19rocblas_complex_numIdEPKS1_PKS3_PKPS1_EviT3_lT4_lT_lT5_lSB_li.num_vgpr, 18
	.set _ZL27rocblas_axpy_kernel_batchedIiLi128ELi8E19rocblas_complex_numIdEPKS1_PKS3_PKPS1_EviT3_lT4_lT_lT5_lSB_li.num_agpr, 0
	.set _ZL27rocblas_axpy_kernel_batchedIiLi128ELi8E19rocblas_complex_numIdEPKS1_PKS3_PKPS1_EviT3_lT4_lT_lT5_lSB_li.numbered_sgpr, 20
	.set _ZL27rocblas_axpy_kernel_batchedIiLi128ELi8E19rocblas_complex_numIdEPKS1_PKS3_PKPS1_EviT3_lT4_lT_lT5_lSB_li.num_named_barrier, 0
	.set _ZL27rocblas_axpy_kernel_batchedIiLi128ELi8E19rocblas_complex_numIdEPKS1_PKS3_PKPS1_EviT3_lT4_lT_lT5_lSB_li.private_seg_size, 0
	.set _ZL27rocblas_axpy_kernel_batchedIiLi128ELi8E19rocblas_complex_numIdEPKS1_PKS3_PKPS1_EviT3_lT4_lT_lT5_lSB_li.uses_vcc, 1
	.set _ZL27rocblas_axpy_kernel_batchedIiLi128ELi8E19rocblas_complex_numIdEPKS1_PKS3_PKPS1_EviT3_lT4_lT_lT5_lSB_li.uses_flat_scratch, 0
	.set _ZL27rocblas_axpy_kernel_batchedIiLi128ELi8E19rocblas_complex_numIdEPKS1_PKS3_PKPS1_EviT3_lT4_lT_lT5_lSB_li.has_dyn_sized_stack, 0
	.set _ZL27rocblas_axpy_kernel_batchedIiLi128ELi8E19rocblas_complex_numIdEPKS1_PKS3_PKPS1_EviT3_lT4_lT_lT5_lSB_li.has_recursion, 0
	.set _ZL27rocblas_axpy_kernel_batchedIiLi128ELi8E19rocblas_complex_numIdEPKS1_PKS3_PKPS1_EviT3_lT4_lT_lT5_lSB_li.has_indirect_call, 0
	.section	.AMDGPU.csdata,"",@progbits
; Kernel info:
; codeLenInByte = 1312
; TotalNumSgprs: 24
; NumVgprs: 18
; ScratchSize: 0
; MemoryBound: 0
; FloatMode: 240
; IeeeMode: 1
; LDSByteSize: 0 bytes/workgroup (compile time only)
; SGPRBlocks: 2
; VGPRBlocks: 4
; NumSGPRsForWavesPerEU: 24
; NumVGPRsForWavesPerEU: 18
; Occupancy: 10
; WaveLimiterHint : 1
; COMPUTE_PGM_RSRC2:SCRATCH_EN: 0
; COMPUTE_PGM_RSRC2:USER_SGPR: 6
; COMPUTE_PGM_RSRC2:TRAP_HANDLER: 0
; COMPUTE_PGM_RSRC2:TGID_X_EN: 1
; COMPUTE_PGM_RSRC2:TGID_Y_EN: 0
; COMPUTE_PGM_RSRC2:TGID_Z_EN: 1
; COMPUTE_PGM_RSRC2:TIDIG_COMP_CNT: 1
	.section	.text._ZL27rocblas_axpy_kernel_batchedIiLi128ELi8E19rocblas_complex_numIdES1_PKPKS1_PKPS1_EviT3_lT4_lT_lT5_lSB_li,"axG",@progbits,_ZL27rocblas_axpy_kernel_batchedIiLi128ELi8E19rocblas_complex_numIdES1_PKPKS1_PKPS1_EviT3_lT4_lT_lT5_lSB_li,comdat
	.globl	_ZL27rocblas_axpy_kernel_batchedIiLi128ELi8E19rocblas_complex_numIdES1_PKPKS1_PKPS1_EviT3_lT4_lT_lT5_lSB_li ; -- Begin function _ZL27rocblas_axpy_kernel_batchedIiLi128ELi8E19rocblas_complex_numIdES1_PKPKS1_PKPS1_EviT3_lT4_lT_lT5_lSB_li
	.p2align	8
	.type	_ZL27rocblas_axpy_kernel_batchedIiLi128ELi8E19rocblas_complex_numIdES1_PKPKS1_PKPS1_EviT3_lT4_lT_lT5_lSB_li,@function
_ZL27rocblas_axpy_kernel_batchedIiLi128ELi8E19rocblas_complex_numIdES1_PKPKS1_PKPS1_EviT3_lT4_lT_lT5_lSB_li: ; @_ZL27rocblas_axpy_kernel_batchedIiLi128ELi8E19rocblas_complex_numIdES1_PKPKS1_PKPS1_EviT3_lT4_lT_lT5_lSB_li
; %bb.0:
	s_load_dword s0, s[4:5], 0x0
	v_lshl_add_u32 v2, s6, 7, v0
	v_mov_b32_e32 v3, 0
	s_waitcnt lgkmcnt(0)
	s_ashr_i32 s1, s0, 31
	v_cmp_gt_i64_e32 vcc, s[0:1], v[2:3]
	s_and_saveexec_b64 s[0:1], vcc
	s_cbranch_execz .LBB89_9
; %bb.1:
	s_load_dword s6, s[4:5], 0x30
	s_load_dwordx4 s[8:11], s[4:5], 0x40
	s_load_dword s17, s[4:5], 0x50
	s_load_dword s16, s[4:5], 0x60
	s_waitcnt lgkmcnt(0)
	v_mad_u64_u32 v[5:6], s[0:1], s6, v2, 0
	s_load_dwordx4 s[0:3], s[4:5], 0x8
	s_load_dwordx4 s[12:15], s[4:5], 0x20
	s_ashr_i32 s6, s6, 31
	v_mov_b32_e32 v0, v6
	v_mad_u64_u32 v[7:8], s[4:5], s17, v2, 0
	v_mad_u64_u32 v[3:4], s[4:5], s6, v2, v[0:1]
	s_waitcnt lgkmcnt(0)
	v_cmp_eq_f64_e64 s[4:5], s[0:1], 0
	v_cmp_eq_f64_e64 s[18:19], s[2:3], 0
	s_ashr_i32 s20, s17, 31
	v_mov_b32_e32 v0, v8
	v_mad_u64_u32 v[8:9], s[20:21], s20, v2, v[0:1]
	v_lshlrev_b32_e32 v0, 2, v1
	v_lshl_add_u32 v4, s7, 5, v0
	v_mov_b32_e32 v6, v3
	s_and_b64 s[4:5], s[4:5], s[18:19]
	s_xor_b64 s[4:5], s[4:5], -1
	v_cmp_gt_u32_e32 vcc, s16, v4
	v_lshlrev_b64 v[2:3], 4, v[5:6]
	v_lshlrev_b64 v[0:1], 4, v[7:8]
	s_and_b64 s[18:19], vcc, s[4:5]
	s_and_saveexec_b64 s[6:7], s[18:19]
	s_cbranch_execz .LBB89_3
; %bb.2:
	v_mov_b32_e32 v5, 0
	v_lshlrev_b64 v[5:6], 3, v[4:5]
	v_mov_b32_e32 v8, s13
	v_add_co_u32_e32 v7, vcc, s12, v5
	v_addc_co_u32_e32 v8, vcc, v8, v6, vcc
	global_load_dwordx2 v[7:8], v[7:8], off
	v_mov_b32_e32 v9, s9
	v_add_co_u32_e32 v5, vcc, s8, v5
	v_addc_co_u32_e32 v6, vcc, v9, v6, vcc
	global_load_dwordx2 v[9:10], v[5:6], off
	s_lshl_b64 s[18:19], s[14:15], 4
	v_mov_b32_e32 v5, s19
	s_waitcnt vmcnt(1)
	v_add_co_u32_e32 v6, vcc, s18, v7
	v_addc_co_u32_e32 v7, vcc, v8, v5, vcc
	v_add_co_u32_e32 v5, vcc, v6, v2
	v_addc_co_u32_e32 v6, vcc, v7, v3, vcc
	flat_load_dwordx4 v[5:8], v[5:6]
	s_lshl_b64 s[18:19], s[10:11], 4
	v_mov_b32_e32 v11, s19
	s_waitcnt vmcnt(0)
	v_add_co_u32_e32 v9, vcc, s18, v9
	v_addc_co_u32_e32 v10, vcc, v10, v11, vcc
	v_add_co_u32_e32 v13, vcc, v9, v0
	v_addc_co_u32_e32 v14, vcc, v10, v1, vcc
	flat_load_dwordx4 v[9:12], v[13:14]
	s_waitcnt lgkmcnt(0)
	v_mul_f64 v[15:16], s[2:3], v[7:8]
	v_mul_f64 v[7:8], s[0:1], v[7:8]
	v_fma_f64 v[15:16], s[0:1], v[5:6], -v[15:16]
	v_fma_f64 v[7:8], s[2:3], v[5:6], v[7:8]
	s_waitcnt vmcnt(0)
	v_add_f64 v[5:6], v[9:10], v[15:16]
	v_add_f64 v[7:8], v[7:8], v[11:12]
	flat_store_dwordx4 v[13:14], v[5:8]
.LBB89_3:
	s_or_b64 exec, exec, s[6:7]
	v_or_b32_e32 v5, 1, v4
	v_cmp_gt_u32_e32 vcc, s16, v5
	s_and_b64 s[18:19], vcc, s[4:5]
	s_and_saveexec_b64 s[6:7], s[18:19]
	s_cbranch_execz .LBB89_5
; %bb.4:
	v_mov_b32_e32 v5, 0
	v_lshlrev_b64 v[5:6], 3, v[4:5]
	v_mov_b32_e32 v8, s13
	v_add_co_u32_e32 v7, vcc, s12, v5
	v_addc_co_u32_e32 v8, vcc, v8, v6, vcc
	global_load_dwordx2 v[7:8], v[7:8], off offset:8
	v_mov_b32_e32 v9, s9
	v_add_co_u32_e32 v5, vcc, s8, v5
	v_addc_co_u32_e32 v6, vcc, v9, v6, vcc
	global_load_dwordx2 v[9:10], v[5:6], off offset:8
	s_lshl_b64 s[18:19], s[14:15], 4
	v_mov_b32_e32 v5, s19
	s_waitcnt vmcnt(0)
	v_add_co_u32_e32 v6, vcc, s18, v7
	v_addc_co_u32_e32 v7, vcc, v8, v5, vcc
	v_add_co_u32_e32 v5, vcc, v6, v2
	v_addc_co_u32_e32 v6, vcc, v7, v3, vcc
	flat_load_dwordx4 v[5:8], v[5:6]
	s_lshl_b64 s[18:19], s[10:11], 4
	v_mov_b32_e32 v11, s19
	v_add_co_u32_e32 v9, vcc, s18, v9
	v_addc_co_u32_e32 v10, vcc, v10, v11, vcc
	v_add_co_u32_e32 v13, vcc, v9, v0
	v_addc_co_u32_e32 v14, vcc, v10, v1, vcc
	flat_load_dwordx4 v[9:12], v[13:14]
	s_waitcnt vmcnt(0) lgkmcnt(0)
	v_mul_f64 v[15:16], s[2:3], v[7:8]
	v_mul_f64 v[7:8], s[0:1], v[7:8]
	v_fma_f64 v[15:16], s[0:1], v[5:6], -v[15:16]
	v_fma_f64 v[7:8], s[2:3], v[5:6], v[7:8]
	v_add_f64 v[5:6], v[9:10], v[15:16]
	v_add_f64 v[7:8], v[7:8], v[11:12]
	flat_store_dwordx4 v[13:14], v[5:8]
.LBB89_5:
	s_or_b64 exec, exec, s[6:7]
	v_or_b32_e32 v5, 2, v4
	v_cmp_gt_u32_e32 vcc, s16, v5
	s_and_b64 s[18:19], vcc, s[4:5]
	s_and_saveexec_b64 s[6:7], s[18:19]
	s_cbranch_execz .LBB89_7
; %bb.6:
	v_mov_b32_e32 v5, 0
	v_lshlrev_b64 v[5:6], 3, v[4:5]
	v_mov_b32_e32 v8, s13
	v_add_co_u32_e32 v7, vcc, s12, v5
	v_addc_co_u32_e32 v8, vcc, v8, v6, vcc
	global_load_dwordx2 v[7:8], v[7:8], off offset:16
	v_mov_b32_e32 v9, s9
	v_add_co_u32_e32 v5, vcc, s8, v5
	v_addc_co_u32_e32 v6, vcc, v9, v6, vcc
	global_load_dwordx2 v[9:10], v[5:6], off offset:16
	s_lshl_b64 s[18:19], s[14:15], 4
	v_mov_b32_e32 v5, s19
	s_waitcnt vmcnt(0)
	v_add_co_u32_e32 v6, vcc, s18, v7
	v_addc_co_u32_e32 v7, vcc, v8, v5, vcc
	v_add_co_u32_e32 v5, vcc, v6, v2
	v_addc_co_u32_e32 v6, vcc, v7, v3, vcc
	flat_load_dwordx4 v[5:8], v[5:6]
	s_lshl_b64 s[18:19], s[10:11], 4
	v_mov_b32_e32 v11, s19
	v_add_co_u32_e32 v9, vcc, s18, v9
	v_addc_co_u32_e32 v10, vcc, v10, v11, vcc
	v_add_co_u32_e32 v13, vcc, v9, v0
	v_addc_co_u32_e32 v14, vcc, v10, v1, vcc
	flat_load_dwordx4 v[9:12], v[13:14]
	s_waitcnt vmcnt(0) lgkmcnt(0)
	v_mul_f64 v[15:16], s[2:3], v[7:8]
	v_mul_f64 v[7:8], s[0:1], v[7:8]
	v_fma_f64 v[15:16], s[0:1], v[5:6], -v[15:16]
	v_fma_f64 v[7:8], s[2:3], v[5:6], v[7:8]
	v_add_f64 v[5:6], v[9:10], v[15:16]
	v_add_f64 v[7:8], v[7:8], v[11:12]
	flat_store_dwordx4 v[13:14], v[5:8]
.LBB89_7:
	s_or_b64 exec, exec, s[6:7]
	v_or_b32_e32 v5, 3, v4
	v_cmp_gt_u32_e32 vcc, s16, v5
	s_and_b64 s[4:5], vcc, s[4:5]
	s_and_b64 exec, exec, s[4:5]
	s_cbranch_execz .LBB89_9
; %bb.8:
	v_mov_b32_e32 v5, 0
	v_lshlrev_b64 v[4:5], 3, v[4:5]
	v_mov_b32_e32 v7, s13
	v_add_co_u32_e32 v6, vcc, s12, v4
	v_addc_co_u32_e32 v7, vcc, v7, v5, vcc
	global_load_dwordx2 v[6:7], v[6:7], off offset:24
	v_mov_b32_e32 v8, s9
	v_add_co_u32_e32 v4, vcc, s8, v4
	v_addc_co_u32_e32 v5, vcc, v8, v5, vcc
	global_load_dwordx2 v[8:9], v[4:5], off offset:24
	s_lshl_b64 s[4:5], s[14:15], 4
	v_mov_b32_e32 v4, s5
	s_waitcnt vmcnt(0)
	v_add_co_u32_e32 v5, vcc, s4, v6
	v_addc_co_u32_e32 v4, vcc, v7, v4, vcc
	v_add_co_u32_e32 v2, vcc, v5, v2
	v_addc_co_u32_e32 v3, vcc, v4, v3, vcc
	flat_load_dwordx4 v[2:5], v[2:3]
	s_lshl_b64 s[4:5], s[10:11], 4
	v_mov_b32_e32 v6, s5
	v_add_co_u32_e32 v7, vcc, s4, v8
	v_addc_co_u32_e32 v6, vcc, v9, v6, vcc
	v_add_co_u32_e32 v10, vcc, v7, v0
	v_addc_co_u32_e32 v11, vcc, v6, v1, vcc
	flat_load_dwordx4 v[6:9], v[10:11]
	s_waitcnt vmcnt(0) lgkmcnt(0)
	v_mul_f64 v[0:1], s[2:3], v[4:5]
	v_mul_f64 v[4:5], s[0:1], v[4:5]
	v_fma_f64 v[0:1], s[0:1], v[2:3], -v[0:1]
	v_fma_f64 v[2:3], s[2:3], v[2:3], v[4:5]
	v_add_f64 v[0:1], v[6:7], v[0:1]
	v_add_f64 v[2:3], v[2:3], v[8:9]
	flat_store_dwordx4 v[10:11], v[0:3]
.LBB89_9:
	s_endpgm
	.section	.rodata,"a",@progbits
	.p2align	6, 0x0
	.amdhsa_kernel _ZL27rocblas_axpy_kernel_batchedIiLi128ELi8E19rocblas_complex_numIdES1_PKPKS1_PKPS1_EviT3_lT4_lT_lT5_lSB_li
		.amdhsa_group_segment_fixed_size 0
		.amdhsa_private_segment_fixed_size 0
		.amdhsa_kernarg_size 100
		.amdhsa_user_sgpr_count 6
		.amdhsa_user_sgpr_private_segment_buffer 1
		.amdhsa_user_sgpr_dispatch_ptr 0
		.amdhsa_user_sgpr_queue_ptr 0
		.amdhsa_user_sgpr_kernarg_segment_ptr 1
		.amdhsa_user_sgpr_dispatch_id 0
		.amdhsa_user_sgpr_flat_scratch_init 0
		.amdhsa_user_sgpr_private_segment_size 0
		.amdhsa_uses_dynamic_stack 0
		.amdhsa_system_sgpr_private_segment_wavefront_offset 0
		.amdhsa_system_sgpr_workgroup_id_x 1
		.amdhsa_system_sgpr_workgroup_id_y 0
		.amdhsa_system_sgpr_workgroup_id_z 1
		.amdhsa_system_sgpr_workgroup_info 0
		.amdhsa_system_vgpr_workitem_id 1
		.amdhsa_next_free_vgpr 17
		.amdhsa_next_free_sgpr 22
		.amdhsa_reserve_vcc 1
		.amdhsa_reserve_flat_scratch 0
		.amdhsa_float_round_mode_32 0
		.amdhsa_float_round_mode_16_64 0
		.amdhsa_float_denorm_mode_32 3
		.amdhsa_float_denorm_mode_16_64 3
		.amdhsa_dx10_clamp 1
		.amdhsa_ieee_mode 1
		.amdhsa_fp16_overflow 0
		.amdhsa_exception_fp_ieee_invalid_op 0
		.amdhsa_exception_fp_denorm_src 0
		.amdhsa_exception_fp_ieee_div_zero 0
		.amdhsa_exception_fp_ieee_overflow 0
		.amdhsa_exception_fp_ieee_underflow 0
		.amdhsa_exception_fp_ieee_inexact 0
		.amdhsa_exception_int_div_zero 0
	.end_amdhsa_kernel
	.section	.text._ZL27rocblas_axpy_kernel_batchedIiLi128ELi8E19rocblas_complex_numIdES1_PKPKS1_PKPS1_EviT3_lT4_lT_lT5_lSB_li,"axG",@progbits,_ZL27rocblas_axpy_kernel_batchedIiLi128ELi8E19rocblas_complex_numIdES1_PKPKS1_PKPS1_EviT3_lT4_lT_lT5_lSB_li,comdat
.Lfunc_end89:
	.size	_ZL27rocblas_axpy_kernel_batchedIiLi128ELi8E19rocblas_complex_numIdES1_PKPKS1_PKPS1_EviT3_lT4_lT_lT5_lSB_li, .Lfunc_end89-_ZL27rocblas_axpy_kernel_batchedIiLi128ELi8E19rocblas_complex_numIdES1_PKPKS1_PKPS1_EviT3_lT4_lT_lT5_lSB_li
                                        ; -- End function
	.set _ZL27rocblas_axpy_kernel_batchedIiLi128ELi8E19rocblas_complex_numIdES1_PKPKS1_PKPS1_EviT3_lT4_lT_lT5_lSB_li.num_vgpr, 17
	.set _ZL27rocblas_axpy_kernel_batchedIiLi128ELi8E19rocblas_complex_numIdES1_PKPKS1_PKPS1_EviT3_lT4_lT_lT5_lSB_li.num_agpr, 0
	.set _ZL27rocblas_axpy_kernel_batchedIiLi128ELi8E19rocblas_complex_numIdES1_PKPKS1_PKPS1_EviT3_lT4_lT_lT5_lSB_li.numbered_sgpr, 22
	.set _ZL27rocblas_axpy_kernel_batchedIiLi128ELi8E19rocblas_complex_numIdES1_PKPKS1_PKPS1_EviT3_lT4_lT_lT5_lSB_li.num_named_barrier, 0
	.set _ZL27rocblas_axpy_kernel_batchedIiLi128ELi8E19rocblas_complex_numIdES1_PKPKS1_PKPS1_EviT3_lT4_lT_lT5_lSB_li.private_seg_size, 0
	.set _ZL27rocblas_axpy_kernel_batchedIiLi128ELi8E19rocblas_complex_numIdES1_PKPKS1_PKPS1_EviT3_lT4_lT_lT5_lSB_li.uses_vcc, 1
	.set _ZL27rocblas_axpy_kernel_batchedIiLi128ELi8E19rocblas_complex_numIdES1_PKPKS1_PKPS1_EviT3_lT4_lT_lT5_lSB_li.uses_flat_scratch, 0
	.set _ZL27rocblas_axpy_kernel_batchedIiLi128ELi8E19rocblas_complex_numIdES1_PKPKS1_PKPS1_EviT3_lT4_lT_lT5_lSB_li.has_dyn_sized_stack, 0
	.set _ZL27rocblas_axpy_kernel_batchedIiLi128ELi8E19rocblas_complex_numIdES1_PKPKS1_PKPS1_EviT3_lT4_lT_lT5_lSB_li.has_recursion, 0
	.set _ZL27rocblas_axpy_kernel_batchedIiLi128ELi8E19rocblas_complex_numIdES1_PKPKS1_PKPS1_EviT3_lT4_lT_lT5_lSB_li.has_indirect_call, 0
	.section	.AMDGPU.csdata,"",@progbits
; Kernel info:
; codeLenInByte = 1020
; TotalNumSgprs: 26
; NumVgprs: 17
; ScratchSize: 0
; MemoryBound: 0
; FloatMode: 240
; IeeeMode: 1
; LDSByteSize: 0 bytes/workgroup (compile time only)
; SGPRBlocks: 3
; VGPRBlocks: 4
; NumSGPRsForWavesPerEU: 26
; NumVGPRsForWavesPerEU: 17
; Occupancy: 10
; WaveLimiterHint : 1
; COMPUTE_PGM_RSRC2:SCRATCH_EN: 0
; COMPUTE_PGM_RSRC2:USER_SGPR: 6
; COMPUTE_PGM_RSRC2:TRAP_HANDLER: 0
; COMPUTE_PGM_RSRC2:TGID_X_EN: 1
; COMPUTE_PGM_RSRC2:TGID_Y_EN: 0
; COMPUTE_PGM_RSRC2:TGID_Z_EN: 1
; COMPUTE_PGM_RSRC2:TIDIG_COMP_CNT: 1
	.section	.text._ZL19rocblas_axpy_kernelIiLi256E19rocblas_complex_numIdEPKS1_PKS3_PKPS1_EviT2_lT3_lT_lT4_lSB_li,"axG",@progbits,_ZL19rocblas_axpy_kernelIiLi256E19rocblas_complex_numIdEPKS1_PKS3_PKPS1_EviT2_lT3_lT_lT4_lSB_li,comdat
	.globl	_ZL19rocblas_axpy_kernelIiLi256E19rocblas_complex_numIdEPKS1_PKS3_PKPS1_EviT2_lT3_lT_lT4_lSB_li ; -- Begin function _ZL19rocblas_axpy_kernelIiLi256E19rocblas_complex_numIdEPKS1_PKS3_PKPS1_EviT2_lT3_lT_lT4_lSB_li
	.p2align	8
	.type	_ZL19rocblas_axpy_kernelIiLi256E19rocblas_complex_numIdEPKS1_PKS3_PKPS1_EviT2_lT3_lT_lT4_lSB_li,@function
_ZL19rocblas_axpy_kernelIiLi256E19rocblas_complex_numIdEPKS1_PKS3_PKPS1_EviT2_lT3_lT_lT4_lSB_li: ; @_ZL19rocblas_axpy_kernelIiLi256E19rocblas_complex_numIdEPKS1_PKS3_PKPS1_EviT2_lT3_lT_lT4_lSB_li
; %bb.0:
	s_load_dword s10, s[4:5], 0x0
	s_load_dwordx4 s[0:3], s[4:5], 0x8
	s_mov_b32 s8, s7
	v_lshl_or_b32 v0, s6, 8, v0
	v_mov_b32_e32 v1, 0
	s_waitcnt lgkmcnt(0)
	s_ashr_i32 s11, s10, 31
	s_mul_i32 s3, s3, s7
	s_mul_hi_u32 s7, s2, s7
	s_add_i32 s3, s7, s3
	s_mul_i32 s2, s2, s8
	s_lshl_b64 s[2:3], s[2:3], 4
	s_add_u32 s12, s0, s2
	s_addc_u32 s13, s1, s3
	s_load_dwordx4 s[0:3], s[12:13], 0x0
	v_cmp_gt_i64_e32 vcc, s[10:11], v[0:1]
	s_waitcnt lgkmcnt(0)
	v_cmp_neq_f64_e64 s[12:13], s[0:1], 0
	v_cmp_neq_f64_e64 s[14:15], s[2:3], 0
	s_or_b64 s[6:7], s[12:13], s[14:15]
	s_and_b64 s[6:7], vcc, s[6:7]
	s_and_saveexec_b64 s[10:11], s[6:7]
	s_cbranch_execz .LBB90_2
; %bb.1:
	s_load_dword s10, s[4:5], 0x28
	s_load_dwordx4 s[12:15], s[4:5], 0x18
	s_load_dword s18, s[4:5], 0x48
	s_mov_b32 s9, 0
	s_waitcnt lgkmcnt(0)
	v_mad_u64_u32 v[1:2], s[6:7], s10, v0, 0
	s_ashr_i32 s6, s10, 31
	s_ashr_i32 s19, s18, 31
	v_mad_u64_u32 v[2:3], s[6:7], s6, v0, v[2:3]
	s_lshl_b64 s[6:7], s[8:9], 3
	s_add_u32 s12, s12, s6
	s_addc_u32 s13, s13, s7
	s_load_dwordx2 s[16:17], s[12:13], 0x0
	s_load_dwordx4 s[8:11], s[4:5], 0x38
	s_lshl_b64 s[4:5], s[14:15], 4
	v_lshlrev_b64 v[1:2], 4, v[1:2]
	s_waitcnt lgkmcnt(0)
	s_add_u32 s12, s16, s4
	s_addc_u32 s4, s17, s5
	v_mov_b32_e32 v3, s4
	v_mad_u64_u32 v[4:5], s[4:5], s18, v0, 0
	v_add_co_u32_e32 v1, vcc, s12, v1
	v_addc_co_u32_e32 v2, vcc, v3, v2, vcc
	v_mov_b32_e32 v3, v5
	v_mad_u64_u32 v[5:6], s[4:5], s19, v0, v[3:4]
	flat_load_dwordx4 v[0:3], v[1:2]
	s_add_u32 s4, s8, s6
	s_addc_u32 s5, s9, s7
	s_load_dwordx2 s[4:5], s[4:5], 0x0
	s_lshl_b64 s[6:7], s[10:11], 4
	v_lshlrev_b64 v[4:5], 4, v[4:5]
	s_waitcnt lgkmcnt(0)
	s_add_u32 s4, s4, s6
	s_addc_u32 s5, s5, s7
	v_mov_b32_e32 v6, s5
	v_add_co_u32_e32 v8, vcc, s4, v4
	v_addc_co_u32_e32 v9, vcc, v6, v5, vcc
	flat_load_dwordx4 v[4:7], v[8:9]
	s_waitcnt vmcnt(0)
	v_mul_f64 v[10:11], s[2:3], v[2:3]
	v_mul_f64 v[2:3], s[0:1], v[2:3]
	v_fma_f64 v[10:11], s[0:1], v[0:1], -v[10:11]
	v_fma_f64 v[2:3], s[2:3], v[0:1], v[2:3]
	s_waitcnt lgkmcnt(0)
	v_add_f64 v[0:1], v[4:5], v[10:11]
	v_add_f64 v[2:3], v[2:3], v[6:7]
	flat_store_dwordx4 v[8:9], v[0:3]
.LBB90_2:
	s_endpgm
	.section	.rodata,"a",@progbits
	.p2align	6, 0x0
	.amdhsa_kernel _ZL19rocblas_axpy_kernelIiLi256E19rocblas_complex_numIdEPKS1_PKS3_PKPS1_EviT2_lT3_lT_lT4_lSB_li
		.amdhsa_group_segment_fixed_size 0
		.amdhsa_private_segment_fixed_size 0
		.amdhsa_kernarg_size 92
		.amdhsa_user_sgpr_count 6
		.amdhsa_user_sgpr_private_segment_buffer 1
		.amdhsa_user_sgpr_dispatch_ptr 0
		.amdhsa_user_sgpr_queue_ptr 0
		.amdhsa_user_sgpr_kernarg_segment_ptr 1
		.amdhsa_user_sgpr_dispatch_id 0
		.amdhsa_user_sgpr_flat_scratch_init 0
		.amdhsa_user_sgpr_private_segment_size 0
		.amdhsa_uses_dynamic_stack 0
		.amdhsa_system_sgpr_private_segment_wavefront_offset 0
		.amdhsa_system_sgpr_workgroup_id_x 1
		.amdhsa_system_sgpr_workgroup_id_y 0
		.amdhsa_system_sgpr_workgroup_id_z 1
		.amdhsa_system_sgpr_workgroup_info 0
		.amdhsa_system_vgpr_workitem_id 0
		.amdhsa_next_free_vgpr 12
		.amdhsa_next_free_sgpr 20
		.amdhsa_reserve_vcc 1
		.amdhsa_reserve_flat_scratch 0
		.amdhsa_float_round_mode_32 0
		.amdhsa_float_round_mode_16_64 0
		.amdhsa_float_denorm_mode_32 3
		.amdhsa_float_denorm_mode_16_64 3
		.amdhsa_dx10_clamp 1
		.amdhsa_ieee_mode 1
		.amdhsa_fp16_overflow 0
		.amdhsa_exception_fp_ieee_invalid_op 0
		.amdhsa_exception_fp_denorm_src 0
		.amdhsa_exception_fp_ieee_div_zero 0
		.amdhsa_exception_fp_ieee_overflow 0
		.amdhsa_exception_fp_ieee_underflow 0
		.amdhsa_exception_fp_ieee_inexact 0
		.amdhsa_exception_int_div_zero 0
	.end_amdhsa_kernel
	.section	.text._ZL19rocblas_axpy_kernelIiLi256E19rocblas_complex_numIdEPKS1_PKS3_PKPS1_EviT2_lT3_lT_lT4_lSB_li,"axG",@progbits,_ZL19rocblas_axpy_kernelIiLi256E19rocblas_complex_numIdEPKS1_PKS3_PKPS1_EviT2_lT3_lT_lT4_lSB_li,comdat
.Lfunc_end90:
	.size	_ZL19rocblas_axpy_kernelIiLi256E19rocblas_complex_numIdEPKS1_PKS3_PKPS1_EviT2_lT3_lT_lT4_lSB_li, .Lfunc_end90-_ZL19rocblas_axpy_kernelIiLi256E19rocblas_complex_numIdEPKS1_PKS3_PKPS1_EviT2_lT3_lT_lT4_lSB_li
                                        ; -- End function
	.set _ZL19rocblas_axpy_kernelIiLi256E19rocblas_complex_numIdEPKS1_PKS3_PKPS1_EviT2_lT3_lT_lT4_lSB_li.num_vgpr, 12
	.set _ZL19rocblas_axpy_kernelIiLi256E19rocblas_complex_numIdEPKS1_PKS3_PKPS1_EviT2_lT3_lT_lT4_lSB_li.num_agpr, 0
	.set _ZL19rocblas_axpy_kernelIiLi256E19rocblas_complex_numIdEPKS1_PKS3_PKPS1_EviT2_lT3_lT_lT4_lSB_li.numbered_sgpr, 20
	.set _ZL19rocblas_axpy_kernelIiLi256E19rocblas_complex_numIdEPKS1_PKS3_PKPS1_EviT2_lT3_lT_lT4_lSB_li.num_named_barrier, 0
	.set _ZL19rocblas_axpy_kernelIiLi256E19rocblas_complex_numIdEPKS1_PKS3_PKPS1_EviT2_lT3_lT_lT4_lSB_li.private_seg_size, 0
	.set _ZL19rocblas_axpy_kernelIiLi256E19rocblas_complex_numIdEPKS1_PKS3_PKPS1_EviT2_lT3_lT_lT4_lSB_li.uses_vcc, 1
	.set _ZL19rocblas_axpy_kernelIiLi256E19rocblas_complex_numIdEPKS1_PKS3_PKPS1_EviT2_lT3_lT_lT4_lSB_li.uses_flat_scratch, 0
	.set _ZL19rocblas_axpy_kernelIiLi256E19rocblas_complex_numIdEPKS1_PKS3_PKPS1_EviT2_lT3_lT_lT4_lSB_li.has_dyn_sized_stack, 0
	.set _ZL19rocblas_axpy_kernelIiLi256E19rocblas_complex_numIdEPKS1_PKS3_PKPS1_EviT2_lT3_lT_lT4_lSB_li.has_recursion, 0
	.set _ZL19rocblas_axpy_kernelIiLi256E19rocblas_complex_numIdEPKS1_PKS3_PKPS1_EviT2_lT3_lT_lT4_lSB_li.has_indirect_call, 0
	.section	.AMDGPU.csdata,"",@progbits
; Kernel info:
; codeLenInByte = 392
; TotalNumSgprs: 24
; NumVgprs: 12
; ScratchSize: 0
; MemoryBound: 0
; FloatMode: 240
; IeeeMode: 1
; LDSByteSize: 0 bytes/workgroup (compile time only)
; SGPRBlocks: 2
; VGPRBlocks: 2
; NumSGPRsForWavesPerEU: 24
; NumVGPRsForWavesPerEU: 12
; Occupancy: 10
; WaveLimiterHint : 1
; COMPUTE_PGM_RSRC2:SCRATCH_EN: 0
; COMPUTE_PGM_RSRC2:USER_SGPR: 6
; COMPUTE_PGM_RSRC2:TRAP_HANDLER: 0
; COMPUTE_PGM_RSRC2:TGID_X_EN: 1
; COMPUTE_PGM_RSRC2:TGID_Y_EN: 0
; COMPUTE_PGM_RSRC2:TGID_Z_EN: 1
; COMPUTE_PGM_RSRC2:TIDIG_COMP_CNT: 0
	.section	.text._ZL19rocblas_axpy_kernelIiLi256E19rocblas_complex_numIdES1_PKPKS1_PKPS1_EviT2_lT3_lT_lT4_lSB_li,"axG",@progbits,_ZL19rocblas_axpy_kernelIiLi256E19rocblas_complex_numIdES1_PKPKS1_PKPS1_EviT2_lT3_lT_lT4_lSB_li,comdat
	.globl	_ZL19rocblas_axpy_kernelIiLi256E19rocblas_complex_numIdES1_PKPKS1_PKPS1_EviT2_lT3_lT_lT4_lSB_li ; -- Begin function _ZL19rocblas_axpy_kernelIiLi256E19rocblas_complex_numIdES1_PKPKS1_PKPS1_EviT2_lT3_lT_lT4_lSB_li
	.p2align	8
	.type	_ZL19rocblas_axpy_kernelIiLi256E19rocblas_complex_numIdES1_PKPKS1_PKPS1_EviT2_lT3_lT_lT4_lSB_li,@function
_ZL19rocblas_axpy_kernelIiLi256E19rocblas_complex_numIdES1_PKPKS1_PKPS1_EviT2_lT3_lT_lT4_lSB_li: ; @_ZL19rocblas_axpy_kernelIiLi256E19rocblas_complex_numIdES1_PKPKS1_PKPS1_EviT2_lT3_lT_lT4_lSB_li
; %bb.0:
	s_load_dwordx4 s[0:3], s[4:5], 0x8
	s_load_dword s10, s[4:5], 0x0
	v_lshl_or_b32 v0, s6, 8, v0
	v_mov_b32_e32 v1, 0
	s_mov_b32 s8, s7
	s_waitcnt lgkmcnt(0)
	v_cmp_neq_f64_e64 s[12:13], s[0:1], 0
	v_cmp_neq_f64_e64 s[14:15], s[2:3], 0
	s_ashr_i32 s11, s10, 31
	v_cmp_gt_i64_e32 vcc, s[10:11], v[0:1]
	s_or_b64 s[6:7], s[12:13], s[14:15]
	s_and_b64 s[6:7], vcc, s[6:7]
	s_and_saveexec_b64 s[10:11], s[6:7]
	s_cbranch_execz .LBB91_2
; %bb.1:
	s_load_dword s10, s[4:5], 0x30
	s_load_dwordx4 s[12:15], s[4:5], 0x20
	s_load_dword s18, s[4:5], 0x50
	s_mov_b32 s9, 0
	s_waitcnt lgkmcnt(0)
	v_mad_u64_u32 v[1:2], s[6:7], s10, v0, 0
	s_ashr_i32 s6, s10, 31
	s_ashr_i32 s19, s18, 31
	v_mad_u64_u32 v[2:3], s[6:7], s6, v0, v[2:3]
	s_lshl_b64 s[6:7], s[8:9], 3
	s_add_u32 s12, s12, s6
	s_addc_u32 s13, s13, s7
	s_load_dwordx2 s[16:17], s[12:13], 0x0
	s_load_dwordx4 s[8:11], s[4:5], 0x40
	s_lshl_b64 s[4:5], s[14:15], 4
	v_lshlrev_b64 v[1:2], 4, v[1:2]
	s_waitcnt lgkmcnt(0)
	s_add_u32 s12, s16, s4
	s_addc_u32 s4, s17, s5
	v_mov_b32_e32 v3, s4
	v_mad_u64_u32 v[4:5], s[4:5], s18, v0, 0
	v_add_co_u32_e32 v1, vcc, s12, v1
	v_addc_co_u32_e32 v2, vcc, v3, v2, vcc
	v_mov_b32_e32 v3, v5
	v_mad_u64_u32 v[5:6], s[4:5], s19, v0, v[3:4]
	flat_load_dwordx4 v[0:3], v[1:2]
	s_add_u32 s4, s8, s6
	s_addc_u32 s5, s9, s7
	s_load_dwordx2 s[4:5], s[4:5], 0x0
	s_lshl_b64 s[6:7], s[10:11], 4
	v_lshlrev_b64 v[4:5], 4, v[4:5]
	s_waitcnt lgkmcnt(0)
	s_add_u32 s4, s4, s6
	s_addc_u32 s5, s5, s7
	v_mov_b32_e32 v6, s5
	v_add_co_u32_e32 v8, vcc, s4, v4
	v_addc_co_u32_e32 v9, vcc, v6, v5, vcc
	flat_load_dwordx4 v[4:7], v[8:9]
	s_waitcnt vmcnt(0)
	v_mul_f64 v[10:11], s[2:3], v[2:3]
	v_mul_f64 v[2:3], s[0:1], v[2:3]
	v_fma_f64 v[10:11], s[0:1], v[0:1], -v[10:11]
	v_fma_f64 v[2:3], s[2:3], v[0:1], v[2:3]
	s_waitcnt lgkmcnt(0)
	v_add_f64 v[0:1], v[4:5], v[10:11]
	v_add_f64 v[2:3], v[2:3], v[6:7]
	flat_store_dwordx4 v[8:9], v[0:3]
.LBB91_2:
	s_endpgm
	.section	.rodata,"a",@progbits
	.p2align	6, 0x0
	.amdhsa_kernel _ZL19rocblas_axpy_kernelIiLi256E19rocblas_complex_numIdES1_PKPKS1_PKPS1_EviT2_lT3_lT_lT4_lSB_li
		.amdhsa_group_segment_fixed_size 0
		.amdhsa_private_segment_fixed_size 0
		.amdhsa_kernarg_size 100
		.amdhsa_user_sgpr_count 6
		.amdhsa_user_sgpr_private_segment_buffer 1
		.amdhsa_user_sgpr_dispatch_ptr 0
		.amdhsa_user_sgpr_queue_ptr 0
		.amdhsa_user_sgpr_kernarg_segment_ptr 1
		.amdhsa_user_sgpr_dispatch_id 0
		.amdhsa_user_sgpr_flat_scratch_init 0
		.amdhsa_user_sgpr_private_segment_size 0
		.amdhsa_uses_dynamic_stack 0
		.amdhsa_system_sgpr_private_segment_wavefront_offset 0
		.amdhsa_system_sgpr_workgroup_id_x 1
		.amdhsa_system_sgpr_workgroup_id_y 0
		.amdhsa_system_sgpr_workgroup_id_z 1
		.amdhsa_system_sgpr_workgroup_info 0
		.amdhsa_system_vgpr_workitem_id 0
		.amdhsa_next_free_vgpr 12
		.amdhsa_next_free_sgpr 20
		.amdhsa_reserve_vcc 1
		.amdhsa_reserve_flat_scratch 0
		.amdhsa_float_round_mode_32 0
		.amdhsa_float_round_mode_16_64 0
		.amdhsa_float_denorm_mode_32 3
		.amdhsa_float_denorm_mode_16_64 3
		.amdhsa_dx10_clamp 1
		.amdhsa_ieee_mode 1
		.amdhsa_fp16_overflow 0
		.amdhsa_exception_fp_ieee_invalid_op 0
		.amdhsa_exception_fp_denorm_src 0
		.amdhsa_exception_fp_ieee_div_zero 0
		.amdhsa_exception_fp_ieee_overflow 0
		.amdhsa_exception_fp_ieee_underflow 0
		.amdhsa_exception_fp_ieee_inexact 0
		.amdhsa_exception_int_div_zero 0
	.end_amdhsa_kernel
	.section	.text._ZL19rocblas_axpy_kernelIiLi256E19rocblas_complex_numIdES1_PKPKS1_PKPS1_EviT2_lT3_lT_lT4_lSB_li,"axG",@progbits,_ZL19rocblas_axpy_kernelIiLi256E19rocblas_complex_numIdES1_PKPKS1_PKPS1_EviT2_lT3_lT_lT4_lSB_li,comdat
.Lfunc_end91:
	.size	_ZL19rocblas_axpy_kernelIiLi256E19rocblas_complex_numIdES1_PKPKS1_PKPS1_EviT2_lT3_lT_lT4_lSB_li, .Lfunc_end91-_ZL19rocblas_axpy_kernelIiLi256E19rocblas_complex_numIdES1_PKPKS1_PKPS1_EviT2_lT3_lT_lT4_lSB_li
                                        ; -- End function
	.set _ZL19rocblas_axpy_kernelIiLi256E19rocblas_complex_numIdES1_PKPKS1_PKPS1_EviT2_lT3_lT_lT4_lSB_li.num_vgpr, 12
	.set _ZL19rocblas_axpy_kernelIiLi256E19rocblas_complex_numIdES1_PKPKS1_PKPS1_EviT2_lT3_lT_lT4_lSB_li.num_agpr, 0
	.set _ZL19rocblas_axpy_kernelIiLi256E19rocblas_complex_numIdES1_PKPKS1_PKPS1_EviT2_lT3_lT_lT4_lSB_li.numbered_sgpr, 20
	.set _ZL19rocblas_axpy_kernelIiLi256E19rocblas_complex_numIdES1_PKPKS1_PKPS1_EviT2_lT3_lT_lT4_lSB_li.num_named_barrier, 0
	.set _ZL19rocblas_axpy_kernelIiLi256E19rocblas_complex_numIdES1_PKPKS1_PKPS1_EviT2_lT3_lT_lT4_lSB_li.private_seg_size, 0
	.set _ZL19rocblas_axpy_kernelIiLi256E19rocblas_complex_numIdES1_PKPKS1_PKPS1_EviT2_lT3_lT_lT4_lSB_li.uses_vcc, 1
	.set _ZL19rocblas_axpy_kernelIiLi256E19rocblas_complex_numIdES1_PKPKS1_PKPS1_EviT2_lT3_lT_lT4_lSB_li.uses_flat_scratch, 0
	.set _ZL19rocblas_axpy_kernelIiLi256E19rocblas_complex_numIdES1_PKPKS1_PKPS1_EviT2_lT3_lT_lT4_lSB_li.has_dyn_sized_stack, 0
	.set _ZL19rocblas_axpy_kernelIiLi256E19rocblas_complex_numIdES1_PKPKS1_PKPS1_EviT2_lT3_lT_lT4_lSB_li.has_recursion, 0
	.set _ZL19rocblas_axpy_kernelIiLi256E19rocblas_complex_numIdES1_PKPKS1_PKPS1_EviT2_lT3_lT_lT4_lSB_li.has_indirect_call, 0
	.section	.AMDGPU.csdata,"",@progbits
; Kernel info:
; codeLenInByte = 352
; TotalNumSgprs: 24
; NumVgprs: 12
; ScratchSize: 0
; MemoryBound: 0
; FloatMode: 240
; IeeeMode: 1
; LDSByteSize: 0 bytes/workgroup (compile time only)
; SGPRBlocks: 2
; VGPRBlocks: 2
; NumSGPRsForWavesPerEU: 24
; NumVGPRsForWavesPerEU: 12
; Occupancy: 10
; WaveLimiterHint : 1
; COMPUTE_PGM_RSRC2:SCRATCH_EN: 0
; COMPUTE_PGM_RSRC2:USER_SGPR: 6
; COMPUTE_PGM_RSRC2:TRAP_HANDLER: 0
; COMPUTE_PGM_RSRC2:TGID_X_EN: 1
; COMPUTE_PGM_RSRC2:TGID_Y_EN: 0
; COMPUTE_PGM_RSRC2:TGID_Z_EN: 1
; COMPUTE_PGM_RSRC2:TIDIG_COMP_CNT: 0
	.section	.text._ZL26rocblas_haxpy_mlt_8_kernelILi256EPKDF16_PK16rocblas_bfloat16PS2_EviT0_lT1_llT2_lli,"axG",@progbits,_ZL26rocblas_haxpy_mlt_8_kernelILi256EPKDF16_PK16rocblas_bfloat16PS2_EviT0_lT1_llT2_lli,comdat
	.globl	_ZL26rocblas_haxpy_mlt_8_kernelILi256EPKDF16_PK16rocblas_bfloat16PS2_EviT0_lT1_llT2_lli ; -- Begin function _ZL26rocblas_haxpy_mlt_8_kernelILi256EPKDF16_PK16rocblas_bfloat16PS2_EviT0_lT1_llT2_lli
	.p2align	8
	.type	_ZL26rocblas_haxpy_mlt_8_kernelILi256EPKDF16_PK16rocblas_bfloat16PS2_EviT0_lT1_llT2_lli,@function
_ZL26rocblas_haxpy_mlt_8_kernelILi256EPKDF16_PK16rocblas_bfloat16PS2_EviT0_lT1_llT2_lli: ; @_ZL26rocblas_haxpy_mlt_8_kernelILi256EPKDF16_PK16rocblas_bfloat16PS2_EviT0_lT1_llT2_lli
; %bb.0:
	s_load_dwordx16 s[8:23], s[4:5], 0x8
	v_mov_b32_e32 v1, 0
	s_waitcnt lgkmcnt(0)
	s_mul_i32 s0, s11, s7
	s_mul_hi_u32 s1, s10, s7
	s_add_i32 s1, s1, s0
	s_mul_i32 s0, s10, s7
	s_lshl_b64 s[0:1], s[0:1], 1
	s_add_u32 s0, s8, s0
	s_addc_u32 s1, s9, s1
	global_load_ushort v2, v1, s[0:1]
	s_waitcnt vmcnt(0)
	v_and_b32_e32 v3, 0xffff, v2
	v_lshl_or_b32 v3, v2, 16, v3
	v_and_b32_e32 v3, 0x7fff, v3
	v_cmp_eq_u32_e32 vcc, 0, v3
	s_cbranch_vccnz .LBB92_3
; %bb.1:
	s_load_dword s0, s[4:5], 0x0
	v_lshl_or_b32 v0, s6, 8, v0
	v_lshlrev_b64 v[0:1], 3, v[0:1]
	s_waitcnt lgkmcnt(0)
	s_ashr_i32 s1, s0, 31
	v_cmp_gt_i64_e32 vcc, s[0:1], v[0:1]
	s_and_saveexec_b64 s[0:1], vcc
	s_cbranch_execz .LBB92_3
; %bb.2:
	s_mul_i32 s0, s17, s7
	s_mul_hi_u32 s1, s16, s7
	s_add_i32 s1, s1, s0
	s_mul_i32 s0, s16, s7
	s_lshl_b64 s[0:1], s[0:1], 1
	s_add_u32 s2, s12, s0
	s_addc_u32 s3, s13, s1
	s_lshl_b64 s[0:1], s[14:15], 1
	s_add_u32 s0, s2, s0
	v_lshlrev_b64 v[0:1], 1, v[0:1]
	s_addc_u32 s1, s3, s1
	v_mov_b32_e32 v3, s1
	v_add_co_u32_e32 v11, vcc, s0, v0
	s_mul_i32 s0, s23, s7
	s_mul_hi_u32 s1, s22, s7
	s_add_i32 s1, s1, s0
	s_mul_i32 s0, s22, s7
	s_lshl_b64 s[0:1], s[0:1], 1
	s_add_u32 s2, s18, s0
	s_addc_u32 s3, s19, s1
	s_lshl_b64 s[0:1], s[20:21], 1
	s_add_u32 s0, s2, s0
	v_addc_co_u32_e32 v12, vcc, v3, v1, vcc
	s_addc_u32 s1, s3, s1
	v_mov_b32_e32 v3, s1
	v_add_co_u32_e32 v0, vcc, s0, v0
	v_addc_co_u32_e32 v1, vcc, v3, v1, vcc
	global_load_dwordx4 v[3:6], v[11:12], off
	global_load_dwordx4 v[7:10], v[0:1], off
	s_waitcnt vmcnt(0)
	v_pk_fma_f16 v6, v2, v6, v10 op_sel_hi:[0,1,1]
	v_pk_fma_f16 v5, v2, v5, v9 op_sel_hi:[0,1,1]
	;; [unrolled: 1-line block ×4, first 2 shown]
	global_store_dwordx4 v[0:1], v[3:6], off
.LBB92_3:
	s_endpgm
	.section	.rodata,"a",@progbits
	.p2align	6, 0x0
	.amdhsa_kernel _ZL26rocblas_haxpy_mlt_8_kernelILi256EPKDF16_PK16rocblas_bfloat16PS2_EviT0_lT1_llT2_lli
		.amdhsa_group_segment_fixed_size 0
		.amdhsa_private_segment_fixed_size 0
		.amdhsa_kernarg_size 76
		.amdhsa_user_sgpr_count 6
		.amdhsa_user_sgpr_private_segment_buffer 1
		.amdhsa_user_sgpr_dispatch_ptr 0
		.amdhsa_user_sgpr_queue_ptr 0
		.amdhsa_user_sgpr_kernarg_segment_ptr 1
		.amdhsa_user_sgpr_dispatch_id 0
		.amdhsa_user_sgpr_flat_scratch_init 0
		.amdhsa_user_sgpr_private_segment_size 0
		.amdhsa_uses_dynamic_stack 0
		.amdhsa_system_sgpr_private_segment_wavefront_offset 0
		.amdhsa_system_sgpr_workgroup_id_x 1
		.amdhsa_system_sgpr_workgroup_id_y 0
		.amdhsa_system_sgpr_workgroup_id_z 1
		.amdhsa_system_sgpr_workgroup_info 0
		.amdhsa_system_vgpr_workitem_id 0
		.amdhsa_next_free_vgpr 13
		.amdhsa_next_free_sgpr 24
		.amdhsa_reserve_vcc 1
		.amdhsa_reserve_flat_scratch 0
		.amdhsa_float_round_mode_32 0
		.amdhsa_float_round_mode_16_64 0
		.amdhsa_float_denorm_mode_32 3
		.amdhsa_float_denorm_mode_16_64 3
		.amdhsa_dx10_clamp 1
		.amdhsa_ieee_mode 1
		.amdhsa_fp16_overflow 0
		.amdhsa_exception_fp_ieee_invalid_op 0
		.amdhsa_exception_fp_denorm_src 0
		.amdhsa_exception_fp_ieee_div_zero 0
		.amdhsa_exception_fp_ieee_overflow 0
		.amdhsa_exception_fp_ieee_underflow 0
		.amdhsa_exception_fp_ieee_inexact 0
		.amdhsa_exception_int_div_zero 0
	.end_amdhsa_kernel
	.section	.text._ZL26rocblas_haxpy_mlt_8_kernelILi256EPKDF16_PK16rocblas_bfloat16PS2_EviT0_lT1_llT2_lli,"axG",@progbits,_ZL26rocblas_haxpy_mlt_8_kernelILi256EPKDF16_PK16rocblas_bfloat16PS2_EviT0_lT1_llT2_lli,comdat
.Lfunc_end92:
	.size	_ZL26rocblas_haxpy_mlt_8_kernelILi256EPKDF16_PK16rocblas_bfloat16PS2_EviT0_lT1_llT2_lli, .Lfunc_end92-_ZL26rocblas_haxpy_mlt_8_kernelILi256EPKDF16_PK16rocblas_bfloat16PS2_EviT0_lT1_llT2_lli
                                        ; -- End function
	.set _ZL26rocblas_haxpy_mlt_8_kernelILi256EPKDF16_PK16rocblas_bfloat16PS2_EviT0_lT1_llT2_lli.num_vgpr, 13
	.set _ZL26rocblas_haxpy_mlt_8_kernelILi256EPKDF16_PK16rocblas_bfloat16PS2_EviT0_lT1_llT2_lli.num_agpr, 0
	.set _ZL26rocblas_haxpy_mlt_8_kernelILi256EPKDF16_PK16rocblas_bfloat16PS2_EviT0_lT1_llT2_lli.numbered_sgpr, 24
	.set _ZL26rocblas_haxpy_mlt_8_kernelILi256EPKDF16_PK16rocblas_bfloat16PS2_EviT0_lT1_llT2_lli.num_named_barrier, 0
	.set _ZL26rocblas_haxpy_mlt_8_kernelILi256EPKDF16_PK16rocblas_bfloat16PS2_EviT0_lT1_llT2_lli.private_seg_size, 0
	.set _ZL26rocblas_haxpy_mlt_8_kernelILi256EPKDF16_PK16rocblas_bfloat16PS2_EviT0_lT1_llT2_lli.uses_vcc, 1
	.set _ZL26rocblas_haxpy_mlt_8_kernelILi256EPKDF16_PK16rocblas_bfloat16PS2_EviT0_lT1_llT2_lli.uses_flat_scratch, 0
	.set _ZL26rocblas_haxpy_mlt_8_kernelILi256EPKDF16_PK16rocblas_bfloat16PS2_EviT0_lT1_llT2_lli.has_dyn_sized_stack, 0
	.set _ZL26rocblas_haxpy_mlt_8_kernelILi256EPKDF16_PK16rocblas_bfloat16PS2_EviT0_lT1_llT2_lli.has_recursion, 0
	.set _ZL26rocblas_haxpy_mlt_8_kernelILi256EPKDF16_PK16rocblas_bfloat16PS2_EviT0_lT1_llT2_lli.has_indirect_call, 0
	.section	.AMDGPU.csdata,"",@progbits
; Kernel info:
; codeLenInByte = 308
; TotalNumSgprs: 28
; NumVgprs: 13
; ScratchSize: 0
; MemoryBound: 0
; FloatMode: 240
; IeeeMode: 1
; LDSByteSize: 0 bytes/workgroup (compile time only)
; SGPRBlocks: 3
; VGPRBlocks: 3
; NumSGPRsForWavesPerEU: 28
; NumVGPRsForWavesPerEU: 13
; Occupancy: 10
; WaveLimiterHint : 0
; COMPUTE_PGM_RSRC2:SCRATCH_EN: 0
; COMPUTE_PGM_RSRC2:USER_SGPR: 6
; COMPUTE_PGM_RSRC2:TRAP_HANDLER: 0
; COMPUTE_PGM_RSRC2:TGID_X_EN: 1
; COMPUTE_PGM_RSRC2:TGID_Y_EN: 0
; COMPUTE_PGM_RSRC2:TGID_Z_EN: 1
; COMPUTE_PGM_RSRC2:TIDIG_COMP_CNT: 0
	.section	.text._ZL26rocblas_haxpy_mod_8_kernelILi256EPK16rocblas_bfloat16S2_PS0_EviT0_lT1_llT2_lli,"axG",@progbits,_ZL26rocblas_haxpy_mod_8_kernelILi256EPK16rocblas_bfloat16S2_PS0_EviT0_lT1_llT2_lli,comdat
	.globl	_ZL26rocblas_haxpy_mod_8_kernelILi256EPK16rocblas_bfloat16S2_PS0_EviT0_lT1_llT2_lli ; -- Begin function _ZL26rocblas_haxpy_mod_8_kernelILi256EPK16rocblas_bfloat16S2_PS0_EviT0_lT1_llT2_lli
	.p2align	8
	.type	_ZL26rocblas_haxpy_mod_8_kernelILi256EPK16rocblas_bfloat16S2_PS0_EviT0_lT1_llT2_lli,@function
_ZL26rocblas_haxpy_mod_8_kernelILi256EPK16rocblas_bfloat16S2_PS0_EviT0_lT1_llT2_lli: ; @_ZL26rocblas_haxpy_mod_8_kernelILi256EPK16rocblas_bfloat16S2_PS0_EviT0_lT1_llT2_lli
; %bb.0:
	s_load_dword s0, s[4:5], 0x0
	s_load_dwordx16 s[8:23], s[4:5], 0x8
	v_mov_b32_e32 v1, 0
	v_lshl_or_b32 v0, s6, 8, v0
	s_waitcnt lgkmcnt(0)
	s_ashr_i32 s1, s0, 31
	s_mul_i32 s2, s11, s7
	s_mul_hi_u32 s3, s10, s7
	s_add_i32 s3, s3, s2
	s_mul_i32 s2, s10, s7
	s_lshl_b64 s[2:3], s[2:3], 1
	s_add_u32 s2, s8, s2
	s_addc_u32 s3, s9, s3
	global_load_ushort v2, v1, s[2:3]
	v_cmp_gt_i64_e32 vcc, s[0:1], v[0:1]
	s_waitcnt vmcnt(0)
	v_readfirstlane_b32 s2, v2
	s_and_b32 s2, s2, 0x7fff
	s_cmp_lg_u32 s2, 0
	s_cselect_b64 s[0:1], -1, 0
	s_and_b64 s[0:1], vcc, s[0:1]
	s_and_saveexec_b64 s[2:3], s[0:1]
	s_cbranch_execz .LBB93_10
; %bb.1:
	s_mul_i32 s0, s17, s7
	s_mul_hi_u32 s1, s16, s7
	s_add_i32 s1, s1, s0
	s_mul_i32 s0, s16, s7
	s_lshl_b64 s[0:1], s[0:1], 1
	s_add_u32 s2, s12, s0
	s_addc_u32 s3, s13, s1
	s_lshl_b64 s[0:1], s[14:15], 1
	s_add_u32 s0, s2, s0
	v_lshlrev_b64 v[0:1], 1, v[0:1]
	s_addc_u32 s1, s3, s1
	v_mov_b32_e32 v4, s1
	v_add_co_u32_e32 v3, vcc, s0, v0
	v_addc_co_u32_e32 v4, vcc, v4, v1, vcc
	global_load_ushort v3, v[3:4], off
	v_lshlrev_b32_e32 v2, 16, v2
	s_mov_b32 s0, 0x7f800000
	s_waitcnt vmcnt(0)
	v_lshlrev_b32_e32 v3, 16, v3
	v_mul_f32_e32 v3, v2, v3
	v_and_b32_e32 v2, 0x7f800000, v3
	v_cmp_ne_u32_e32 vcc, s0, v2
                                        ; implicit-def: $vgpr2
	s_and_saveexec_b64 s[0:1], vcc
	s_xor_b64 s[0:1], exec, s[0:1]
; %bb.2:
	v_bfe_u32 v2, v3, 16, 1
	s_movk_i32 s2, 0x7fff
	v_add3_u32 v2, v3, v2, s2
                                        ; implicit-def: $vgpr3
; %bb.3:
	s_andn2_saveexec_b64 s[0:1], s[0:1]
; %bb.4:
	v_mov_b32_e32 v2, 0
	v_or_b32_e32 v4, 0x10000, v3
	v_cmp_eq_u32_sdwa vcc, v3, v2 src0_sel:WORD_0 src1_sel:DWORD
	v_cndmask_b32_e32 v2, v4, v3, vcc
; %bb.5:
	s_or_b64 exec, exec, s[0:1]
	s_mul_i32 s0, s23, s7
	s_mul_hi_u32 s1, s22, s7
	s_add_i32 s1, s1, s0
	s_mul_i32 s0, s22, s7
	s_lshl_b64 s[0:1], s[0:1], 1
	s_add_u32 s2, s18, s0
	s_addc_u32 s3, s19, s1
	s_lshl_b64 s[0:1], s[20:21], 1
	s_add_u32 s0, s2, s0
	s_addc_u32 s1, s3, s1
	v_mov_b32_e32 v3, s1
	v_add_co_u32_e32 v0, vcc, s0, v0
	v_addc_co_u32_e32 v1, vcc, v3, v1, vcc
	global_load_ushort v3, v[0:1], off
	v_and_b32_e32 v2, 0xffff0000, v2
	s_mov_b32 s0, 0x7f800000
	s_waitcnt vmcnt(0)
	v_lshlrev_b32_e32 v3, 16, v3
	v_add_f32_e32 v2, v2, v3
	v_and_b32_e32 v3, 0x7f800000, v2
	v_cmp_ne_u32_e32 vcc, s0, v3
                                        ; implicit-def: $vgpr3
	s_and_saveexec_b64 s[0:1], vcc
	s_xor_b64 s[0:1], exec, s[0:1]
; %bb.6:
	v_bfe_u32 v3, v2, 16, 1
	s_movk_i32 s2, 0x7fff
	v_add3_u32 v3, v2, v3, s2
                                        ; implicit-def: $vgpr2
; %bb.7:
	s_andn2_saveexec_b64 s[0:1], s[0:1]
; %bb.8:
	v_mov_b32_e32 v3, 0
	v_or_b32_e32 v4, 0x10000, v2
	v_cmp_eq_u32_sdwa vcc, v2, v3 src0_sel:WORD_0 src1_sel:DWORD
	v_cndmask_b32_e32 v3, v4, v2, vcc
; %bb.9:
	s_or_b64 exec, exec, s[0:1]
	global_store_short_d16_hi v[0:1], v3, off
.LBB93_10:
	s_endpgm
	.section	.rodata,"a",@progbits
	.p2align	6, 0x0
	.amdhsa_kernel _ZL26rocblas_haxpy_mod_8_kernelILi256EPK16rocblas_bfloat16S2_PS0_EviT0_lT1_llT2_lli
		.amdhsa_group_segment_fixed_size 0
		.amdhsa_private_segment_fixed_size 0
		.amdhsa_kernarg_size 76
		.amdhsa_user_sgpr_count 6
		.amdhsa_user_sgpr_private_segment_buffer 1
		.amdhsa_user_sgpr_dispatch_ptr 0
		.amdhsa_user_sgpr_queue_ptr 0
		.amdhsa_user_sgpr_kernarg_segment_ptr 1
		.amdhsa_user_sgpr_dispatch_id 0
		.amdhsa_user_sgpr_flat_scratch_init 0
		.amdhsa_user_sgpr_private_segment_size 0
		.amdhsa_uses_dynamic_stack 0
		.amdhsa_system_sgpr_private_segment_wavefront_offset 0
		.amdhsa_system_sgpr_workgroup_id_x 1
		.amdhsa_system_sgpr_workgroup_id_y 0
		.amdhsa_system_sgpr_workgroup_id_z 1
		.amdhsa_system_sgpr_workgroup_info 0
		.amdhsa_system_vgpr_workitem_id 0
		.amdhsa_next_free_vgpr 5
		.amdhsa_next_free_sgpr 24
		.amdhsa_reserve_vcc 1
		.amdhsa_reserve_flat_scratch 0
		.amdhsa_float_round_mode_32 0
		.amdhsa_float_round_mode_16_64 0
		.amdhsa_float_denorm_mode_32 3
		.amdhsa_float_denorm_mode_16_64 3
		.amdhsa_dx10_clamp 1
		.amdhsa_ieee_mode 1
		.amdhsa_fp16_overflow 0
		.amdhsa_exception_fp_ieee_invalid_op 0
		.amdhsa_exception_fp_denorm_src 0
		.amdhsa_exception_fp_ieee_div_zero 0
		.amdhsa_exception_fp_ieee_overflow 0
		.amdhsa_exception_fp_ieee_underflow 0
		.amdhsa_exception_fp_ieee_inexact 0
		.amdhsa_exception_int_div_zero 0
	.end_amdhsa_kernel
	.section	.text._ZL26rocblas_haxpy_mod_8_kernelILi256EPK16rocblas_bfloat16S2_PS0_EviT0_lT1_llT2_lli,"axG",@progbits,_ZL26rocblas_haxpy_mod_8_kernelILi256EPK16rocblas_bfloat16S2_PS0_EviT0_lT1_llT2_lli,comdat
.Lfunc_end93:
	.size	_ZL26rocblas_haxpy_mod_8_kernelILi256EPK16rocblas_bfloat16S2_PS0_EviT0_lT1_llT2_lli, .Lfunc_end93-_ZL26rocblas_haxpy_mod_8_kernelILi256EPK16rocblas_bfloat16S2_PS0_EviT0_lT1_llT2_lli
                                        ; -- End function
	.set _ZL26rocblas_haxpy_mod_8_kernelILi256EPK16rocblas_bfloat16S2_PS0_EviT0_lT1_llT2_lli.num_vgpr, 5
	.set _ZL26rocblas_haxpy_mod_8_kernelILi256EPK16rocblas_bfloat16S2_PS0_EviT0_lT1_llT2_lli.num_agpr, 0
	.set _ZL26rocblas_haxpy_mod_8_kernelILi256EPK16rocblas_bfloat16S2_PS0_EviT0_lT1_llT2_lli.numbered_sgpr, 24
	.set _ZL26rocblas_haxpy_mod_8_kernelILi256EPK16rocblas_bfloat16S2_PS0_EviT0_lT1_llT2_lli.num_named_barrier, 0
	.set _ZL26rocblas_haxpy_mod_8_kernelILi256EPK16rocblas_bfloat16S2_PS0_EviT0_lT1_llT2_lli.private_seg_size, 0
	.set _ZL26rocblas_haxpy_mod_8_kernelILi256EPK16rocblas_bfloat16S2_PS0_EviT0_lT1_llT2_lli.uses_vcc, 1
	.set _ZL26rocblas_haxpy_mod_8_kernelILi256EPK16rocblas_bfloat16S2_PS0_EviT0_lT1_llT2_lli.uses_flat_scratch, 0
	.set _ZL26rocblas_haxpy_mod_8_kernelILi256EPK16rocblas_bfloat16S2_PS0_EviT0_lT1_llT2_lli.has_dyn_sized_stack, 0
	.set _ZL26rocblas_haxpy_mod_8_kernelILi256EPK16rocblas_bfloat16S2_PS0_EviT0_lT1_llT2_lli.has_recursion, 0
	.set _ZL26rocblas_haxpy_mod_8_kernelILi256EPK16rocblas_bfloat16S2_PS0_EviT0_lT1_llT2_lli.has_indirect_call, 0
	.section	.AMDGPU.csdata,"",@progbits
; Kernel info:
; codeLenInByte = 448
; TotalNumSgprs: 28
; NumVgprs: 5
; ScratchSize: 0
; MemoryBound: 0
; FloatMode: 240
; IeeeMode: 1
; LDSByteSize: 0 bytes/workgroup (compile time only)
; SGPRBlocks: 3
; VGPRBlocks: 1
; NumSGPRsForWavesPerEU: 28
; NumVGPRsForWavesPerEU: 5
; Occupancy: 10
; WaveLimiterHint : 0
; COMPUTE_PGM_RSRC2:SCRATCH_EN: 0
; COMPUTE_PGM_RSRC2:USER_SGPR: 6
; COMPUTE_PGM_RSRC2:TRAP_HANDLER: 0
; COMPUTE_PGM_RSRC2:TGID_X_EN: 1
; COMPUTE_PGM_RSRC2:TGID_Y_EN: 0
; COMPUTE_PGM_RSRC2:TGID_Z_EN: 1
; COMPUTE_PGM_RSRC2:TIDIG_COMP_CNT: 0
	.section	.text._ZL26rocblas_haxpy_mlt_8_kernelILi256EDF16_PK16rocblas_bfloat16PS0_EviT0_lT1_llT2_lli,"axG",@progbits,_ZL26rocblas_haxpy_mlt_8_kernelILi256EDF16_PK16rocblas_bfloat16PS0_EviT0_lT1_llT2_lli,comdat
	.globl	_ZL26rocblas_haxpy_mlt_8_kernelILi256EDF16_PK16rocblas_bfloat16PS0_EviT0_lT1_llT2_lli ; -- Begin function _ZL26rocblas_haxpy_mlt_8_kernelILi256EDF16_PK16rocblas_bfloat16PS0_EviT0_lT1_llT2_lli
	.p2align	8
	.type	_ZL26rocblas_haxpy_mlt_8_kernelILi256EDF16_PK16rocblas_bfloat16PS0_EviT0_lT1_llT2_lli,@function
_ZL26rocblas_haxpy_mlt_8_kernelILi256EDF16_PK16rocblas_bfloat16PS0_EviT0_lT1_llT2_lli: ; @_ZL26rocblas_haxpy_mlt_8_kernelILi256EDF16_PK16rocblas_bfloat16PS0_EviT0_lT1_llT2_lli
; %bb.0:
	s_load_dwordx2 s[0:1], s[4:5], 0x0
	s_waitcnt lgkmcnt(0)
	s_pack_ll_b32_b16 s2, s1, s1
	s_and_b32 s2, s2, 0x7fff
	s_cmp_eq_u32 s2, 0
	s_cbranch_scc1 .LBB94_3
; %bb.1:
	v_lshl_or_b32 v0, s6, 8, v0
	v_mov_b32_e32 v1, 0
	v_lshlrev_b64 v[0:1], 3, v[0:1]
	s_ashr_i32 s3, s0, 31
	s_mov_b32 s2, s0
	v_cmp_gt_i64_e32 vcc, s[2:3], v[0:1]
	s_and_saveexec_b64 s[2:3], vcc
	s_cbranch_execz .LBB94_3
; %bb.2:
	s_load_dwordx8 s[8:15], s[4:5], 0x10
	s_load_dwordx4 s[16:19], s[4:5], 0x30
	v_lshlrev_b64 v[0:1], 1, v[0:1]
	s_waitcnt lgkmcnt(0)
	s_mul_i32 s0, s13, s7
	s_mul_hi_u32 s3, s12, s7
	s_mul_i32 s2, s12, s7
	s_add_i32 s3, s3, s0
	s_lshl_b64 s[2:3], s[2:3], 1
	s_add_u32 s0, s8, s2
	s_addc_u32 s4, s9, s3
	s_lshl_b64 s[2:3], s[10:11], 1
	s_add_u32 s0, s0, s2
	s_addc_u32 s2, s4, s3
	v_mov_b32_e32 v2, s2
	v_add_co_u32_e32 v8, vcc, s0, v0
	s_mul_i32 s0, s19, s7
	s_mul_hi_u32 s2, s18, s7
	s_add_i32 s3, s2, s0
	s_mul_i32 s2, s18, s7
	s_lshl_b64 s[2:3], s[2:3], 1
	s_add_u32 s0, s14, s2
	s_addc_u32 s4, s15, s3
	s_lshl_b64 s[2:3], s[16:17], 1
	s_add_u32 s0, s0, s2
	v_addc_co_u32_e32 v9, vcc, v2, v1, vcc
	s_addc_u32 s2, s4, s3
	v_mov_b32_e32 v2, s2
	v_add_co_u32_e32 v10, vcc, s0, v0
	v_addc_co_u32_e32 v11, vcc, v2, v1, vcc
	global_load_dwordx4 v[0:3], v[8:9], off
	global_load_dwordx4 v[4:7], v[10:11], off
	s_waitcnt vmcnt(0)
	v_pk_fma_f16 v3, s1, v3, v7 op_sel_hi:[0,1,1]
	v_pk_fma_f16 v2, s1, v2, v6 op_sel_hi:[0,1,1]
	;; [unrolled: 1-line block ×4, first 2 shown]
	global_store_dwordx4 v[10:11], v[0:3], off
.LBB94_3:
	s_endpgm
	.section	.rodata,"a",@progbits
	.p2align	6, 0x0
	.amdhsa_kernel _ZL26rocblas_haxpy_mlt_8_kernelILi256EDF16_PK16rocblas_bfloat16PS0_EviT0_lT1_llT2_lli
		.amdhsa_group_segment_fixed_size 0
		.amdhsa_private_segment_fixed_size 0
		.amdhsa_kernarg_size 68
		.amdhsa_user_sgpr_count 6
		.amdhsa_user_sgpr_private_segment_buffer 1
		.amdhsa_user_sgpr_dispatch_ptr 0
		.amdhsa_user_sgpr_queue_ptr 0
		.amdhsa_user_sgpr_kernarg_segment_ptr 1
		.amdhsa_user_sgpr_dispatch_id 0
		.amdhsa_user_sgpr_flat_scratch_init 0
		.amdhsa_user_sgpr_private_segment_size 0
		.amdhsa_uses_dynamic_stack 0
		.amdhsa_system_sgpr_private_segment_wavefront_offset 0
		.amdhsa_system_sgpr_workgroup_id_x 1
		.amdhsa_system_sgpr_workgroup_id_y 0
		.amdhsa_system_sgpr_workgroup_id_z 1
		.amdhsa_system_sgpr_workgroup_info 0
		.amdhsa_system_vgpr_workitem_id 0
		.amdhsa_next_free_vgpr 12
		.amdhsa_next_free_sgpr 20
		.amdhsa_reserve_vcc 1
		.amdhsa_reserve_flat_scratch 0
		.amdhsa_float_round_mode_32 0
		.amdhsa_float_round_mode_16_64 0
		.amdhsa_float_denorm_mode_32 3
		.amdhsa_float_denorm_mode_16_64 3
		.amdhsa_dx10_clamp 1
		.amdhsa_ieee_mode 1
		.amdhsa_fp16_overflow 0
		.amdhsa_exception_fp_ieee_invalid_op 0
		.amdhsa_exception_fp_denorm_src 0
		.amdhsa_exception_fp_ieee_div_zero 0
		.amdhsa_exception_fp_ieee_overflow 0
		.amdhsa_exception_fp_ieee_underflow 0
		.amdhsa_exception_fp_ieee_inexact 0
		.amdhsa_exception_int_div_zero 0
	.end_amdhsa_kernel
	.section	.text._ZL26rocblas_haxpy_mlt_8_kernelILi256EDF16_PK16rocblas_bfloat16PS0_EviT0_lT1_llT2_lli,"axG",@progbits,_ZL26rocblas_haxpy_mlt_8_kernelILi256EDF16_PK16rocblas_bfloat16PS0_EviT0_lT1_llT2_lli,comdat
.Lfunc_end94:
	.size	_ZL26rocblas_haxpy_mlt_8_kernelILi256EDF16_PK16rocblas_bfloat16PS0_EviT0_lT1_llT2_lli, .Lfunc_end94-_ZL26rocblas_haxpy_mlt_8_kernelILi256EDF16_PK16rocblas_bfloat16PS0_EviT0_lT1_llT2_lli
                                        ; -- End function
	.set _ZL26rocblas_haxpy_mlt_8_kernelILi256EDF16_PK16rocblas_bfloat16PS0_EviT0_lT1_llT2_lli.num_vgpr, 12
	.set _ZL26rocblas_haxpy_mlt_8_kernelILi256EDF16_PK16rocblas_bfloat16PS0_EviT0_lT1_llT2_lli.num_agpr, 0
	.set _ZL26rocblas_haxpy_mlt_8_kernelILi256EDF16_PK16rocblas_bfloat16PS0_EviT0_lT1_llT2_lli.numbered_sgpr, 20
	.set _ZL26rocblas_haxpy_mlt_8_kernelILi256EDF16_PK16rocblas_bfloat16PS0_EviT0_lT1_llT2_lli.num_named_barrier, 0
	.set _ZL26rocblas_haxpy_mlt_8_kernelILi256EDF16_PK16rocblas_bfloat16PS0_EviT0_lT1_llT2_lli.private_seg_size, 0
	.set _ZL26rocblas_haxpy_mlt_8_kernelILi256EDF16_PK16rocblas_bfloat16PS0_EviT0_lT1_llT2_lli.uses_vcc, 1
	.set _ZL26rocblas_haxpy_mlt_8_kernelILi256EDF16_PK16rocblas_bfloat16PS0_EviT0_lT1_llT2_lli.uses_flat_scratch, 0
	.set _ZL26rocblas_haxpy_mlt_8_kernelILi256EDF16_PK16rocblas_bfloat16PS0_EviT0_lT1_llT2_lli.has_dyn_sized_stack, 0
	.set _ZL26rocblas_haxpy_mlt_8_kernelILi256EDF16_PK16rocblas_bfloat16PS0_EviT0_lT1_llT2_lli.has_recursion, 0
	.set _ZL26rocblas_haxpy_mlt_8_kernelILi256EDF16_PK16rocblas_bfloat16PS0_EviT0_lT1_llT2_lli.has_indirect_call, 0
	.section	.AMDGPU.csdata,"",@progbits
; Kernel info:
; codeLenInByte = 268
; TotalNumSgprs: 24
; NumVgprs: 12
; ScratchSize: 0
; MemoryBound: 0
; FloatMode: 240
; IeeeMode: 1
; LDSByteSize: 0 bytes/workgroup (compile time only)
; SGPRBlocks: 2
; VGPRBlocks: 2
; NumSGPRsForWavesPerEU: 24
; NumVGPRsForWavesPerEU: 12
; Occupancy: 10
; WaveLimiterHint : 0
; COMPUTE_PGM_RSRC2:SCRATCH_EN: 0
; COMPUTE_PGM_RSRC2:USER_SGPR: 6
; COMPUTE_PGM_RSRC2:TRAP_HANDLER: 0
; COMPUTE_PGM_RSRC2:TGID_X_EN: 1
; COMPUTE_PGM_RSRC2:TGID_Y_EN: 0
; COMPUTE_PGM_RSRC2:TGID_Z_EN: 1
; COMPUTE_PGM_RSRC2:TIDIG_COMP_CNT: 0
	.section	.text._ZL26rocblas_haxpy_mod_8_kernelILi256E16rocblas_bfloat16PKS0_PS0_EviT0_lT1_llT2_lli,"axG",@progbits,_ZL26rocblas_haxpy_mod_8_kernelILi256E16rocblas_bfloat16PKS0_PS0_EviT0_lT1_llT2_lli,comdat
	.globl	_ZL26rocblas_haxpy_mod_8_kernelILi256E16rocblas_bfloat16PKS0_PS0_EviT0_lT1_llT2_lli ; -- Begin function _ZL26rocblas_haxpy_mod_8_kernelILi256E16rocblas_bfloat16PKS0_PS0_EviT0_lT1_llT2_lli
	.p2align	8
	.type	_ZL26rocblas_haxpy_mod_8_kernelILi256E16rocblas_bfloat16PKS0_PS0_EviT0_lT1_llT2_lli,@function
_ZL26rocblas_haxpy_mod_8_kernelILi256E16rocblas_bfloat16PKS0_PS0_EviT0_lT1_llT2_lli: ; @_ZL26rocblas_haxpy_mod_8_kernelILi256E16rocblas_bfloat16PKS0_PS0_EviT0_lT1_llT2_lli
; %bb.0:
	s_load_dwordx2 s[16:17], s[4:5], 0x0
	v_lshl_or_b32 v0, s6, 8, v0
	v_mov_b32_e32 v1, 0
	s_waitcnt lgkmcnt(0)
	s_and_b32 s0, s17, 0x7fff
	s_cmp_lg_u32 s0, 0
	s_cselect_b64 s[0:1], -1, 0
	s_ashr_i32 s3, s16, 31
	s_mov_b32 s2, s16
	v_cmp_gt_i64_e32 vcc, s[2:3], v[0:1]
	s_and_b64 s[0:1], vcc, s[0:1]
	s_and_saveexec_b64 s[2:3], s[0:1]
	s_cbranch_execz .LBB95_10
; %bb.1:
	s_load_dwordx8 s[8:15], s[4:5], 0x10
	v_lshlrev_b64 v[0:1], 1, v[0:1]
	s_waitcnt lgkmcnt(0)
	s_mul_i32 s1, s13, s7
	s_mul_hi_u32 s2, s12, s7
	s_mul_i32 s0, s12, s7
	s_add_i32 s1, s2, s1
	s_lshl_b64 s[0:1], s[0:1], 1
	s_add_u32 s2, s8, s0
	s_addc_u32 s3, s9, s1
	s_lshl_b64 s[0:1], s[10:11], 1
	s_add_u32 s0, s2, s0
	s_addc_u32 s1, s3, s1
	v_mov_b32_e32 v3, s1
	v_add_co_u32_e32 v2, vcc, s0, v0
	v_addc_co_u32_e32 v3, vcc, v3, v1, vcc
	global_load_ushort v2, v[2:3], off
	s_load_dwordx4 s[0:3], s[4:5], 0x30
	s_lshl_b32 s4, s17, 16
	s_waitcnt vmcnt(0)
	v_lshlrev_b32_e32 v2, 16, v2
	v_mul_f32_e32 v3, s4, v2
	s_mov_b32 s4, 0x7f800000
	v_and_b32_e32 v2, 0x7f800000, v3
	v_cmp_ne_u32_e32 vcc, s4, v2
                                        ; implicit-def: $vgpr2
	s_and_saveexec_b64 s[4:5], vcc
	s_xor_b64 s[4:5], exec, s[4:5]
; %bb.2:
	v_bfe_u32 v2, v3, 16, 1
	s_movk_i32 s6, 0x7fff
	v_add3_u32 v2, v3, v2, s6
                                        ; implicit-def: $vgpr3
; %bb.3:
	s_andn2_saveexec_b64 s[4:5], s[4:5]
; %bb.4:
	v_mov_b32_e32 v2, 0
	v_or_b32_e32 v4, 0x10000, v3
	v_cmp_eq_u32_sdwa vcc, v3, v2 src0_sel:WORD_0 src1_sel:DWORD
	v_cndmask_b32_e32 v2, v4, v3, vcc
; %bb.5:
	s_or_b64 exec, exec, s[4:5]
	s_waitcnt lgkmcnt(0)
	s_mul_i32 s3, s3, s7
	s_mul_hi_u32 s4, s2, s7
	s_add_i32 s3, s4, s3
	s_mul_i32 s2, s2, s7
	s_lshl_b64 s[2:3], s[2:3], 1
	s_add_u32 s2, s14, s2
	s_addc_u32 s3, s15, s3
	s_lshl_b64 s[0:1], s[0:1], 1
	s_add_u32 s0, s2, s0
	s_addc_u32 s1, s3, s1
	v_mov_b32_e32 v3, s1
	v_add_co_u32_e32 v0, vcc, s0, v0
	v_addc_co_u32_e32 v1, vcc, v3, v1, vcc
	global_load_ushort v3, v[0:1], off
	v_and_b32_e32 v2, 0xffff0000, v2
	s_mov_b32 s0, 0x7f800000
	s_waitcnt vmcnt(0)
	v_lshlrev_b32_e32 v3, 16, v3
	v_add_f32_e32 v2, v2, v3
	v_and_b32_e32 v3, 0x7f800000, v2
	v_cmp_ne_u32_e32 vcc, s0, v3
                                        ; implicit-def: $vgpr3
	s_and_saveexec_b64 s[0:1], vcc
	s_xor_b64 s[0:1], exec, s[0:1]
; %bb.6:
	v_bfe_u32 v3, v2, 16, 1
	s_movk_i32 s2, 0x7fff
	v_add3_u32 v3, v2, v3, s2
                                        ; implicit-def: $vgpr2
; %bb.7:
	s_andn2_saveexec_b64 s[0:1], s[0:1]
; %bb.8:
	v_mov_b32_e32 v3, 0
	v_or_b32_e32 v4, 0x10000, v2
	v_cmp_eq_u32_sdwa vcc, v2, v3 src0_sel:WORD_0 src1_sel:DWORD
	v_cndmask_b32_e32 v3, v4, v2, vcc
; %bb.9:
	s_or_b64 exec, exec, s[0:1]
	global_store_short_d16_hi v[0:1], v3, off
.LBB95_10:
	s_endpgm
	.section	.rodata,"a",@progbits
	.p2align	6, 0x0
	.amdhsa_kernel _ZL26rocblas_haxpy_mod_8_kernelILi256E16rocblas_bfloat16PKS0_PS0_EviT0_lT1_llT2_lli
		.amdhsa_group_segment_fixed_size 0
		.amdhsa_private_segment_fixed_size 0
		.amdhsa_kernarg_size 68
		.amdhsa_user_sgpr_count 6
		.amdhsa_user_sgpr_private_segment_buffer 1
		.amdhsa_user_sgpr_dispatch_ptr 0
		.amdhsa_user_sgpr_queue_ptr 0
		.amdhsa_user_sgpr_kernarg_segment_ptr 1
		.amdhsa_user_sgpr_dispatch_id 0
		.amdhsa_user_sgpr_flat_scratch_init 0
		.amdhsa_user_sgpr_private_segment_size 0
		.amdhsa_uses_dynamic_stack 0
		.amdhsa_system_sgpr_private_segment_wavefront_offset 0
		.amdhsa_system_sgpr_workgroup_id_x 1
		.amdhsa_system_sgpr_workgroup_id_y 0
		.amdhsa_system_sgpr_workgroup_id_z 1
		.amdhsa_system_sgpr_workgroup_info 0
		.amdhsa_system_vgpr_workitem_id 0
		.amdhsa_next_free_vgpr 5
		.amdhsa_next_free_sgpr 18
		.amdhsa_reserve_vcc 1
		.amdhsa_reserve_flat_scratch 0
		.amdhsa_float_round_mode_32 0
		.amdhsa_float_round_mode_16_64 0
		.amdhsa_float_denorm_mode_32 3
		.amdhsa_float_denorm_mode_16_64 3
		.amdhsa_dx10_clamp 1
		.amdhsa_ieee_mode 1
		.amdhsa_fp16_overflow 0
		.amdhsa_exception_fp_ieee_invalid_op 0
		.amdhsa_exception_fp_denorm_src 0
		.amdhsa_exception_fp_ieee_div_zero 0
		.amdhsa_exception_fp_ieee_overflow 0
		.amdhsa_exception_fp_ieee_underflow 0
		.amdhsa_exception_fp_ieee_inexact 0
		.amdhsa_exception_int_div_zero 0
	.end_amdhsa_kernel
	.section	.text._ZL26rocblas_haxpy_mod_8_kernelILi256E16rocblas_bfloat16PKS0_PS0_EviT0_lT1_llT2_lli,"axG",@progbits,_ZL26rocblas_haxpy_mod_8_kernelILi256E16rocblas_bfloat16PKS0_PS0_EviT0_lT1_llT2_lli,comdat
.Lfunc_end95:
	.size	_ZL26rocblas_haxpy_mod_8_kernelILi256E16rocblas_bfloat16PKS0_PS0_EviT0_lT1_llT2_lli, .Lfunc_end95-_ZL26rocblas_haxpy_mod_8_kernelILi256E16rocblas_bfloat16PKS0_PS0_EviT0_lT1_llT2_lli
                                        ; -- End function
	.set _ZL26rocblas_haxpy_mod_8_kernelILi256E16rocblas_bfloat16PKS0_PS0_EviT0_lT1_llT2_lli.num_vgpr, 5
	.set _ZL26rocblas_haxpy_mod_8_kernelILi256E16rocblas_bfloat16PKS0_PS0_EviT0_lT1_llT2_lli.num_agpr, 0
	.set _ZL26rocblas_haxpy_mod_8_kernelILi256E16rocblas_bfloat16PKS0_PS0_EviT0_lT1_llT2_lli.numbered_sgpr, 18
	.set _ZL26rocblas_haxpy_mod_8_kernelILi256E16rocblas_bfloat16PKS0_PS0_EviT0_lT1_llT2_lli.num_named_barrier, 0
	.set _ZL26rocblas_haxpy_mod_8_kernelILi256E16rocblas_bfloat16PKS0_PS0_EviT0_lT1_llT2_lli.private_seg_size, 0
	.set _ZL26rocblas_haxpy_mod_8_kernelILi256E16rocblas_bfloat16PKS0_PS0_EviT0_lT1_llT2_lli.uses_vcc, 1
	.set _ZL26rocblas_haxpy_mod_8_kernelILi256E16rocblas_bfloat16PKS0_PS0_EviT0_lT1_llT2_lli.uses_flat_scratch, 0
	.set _ZL26rocblas_haxpy_mod_8_kernelILi256E16rocblas_bfloat16PKS0_PS0_EviT0_lT1_llT2_lli.has_dyn_sized_stack, 0
	.set _ZL26rocblas_haxpy_mod_8_kernelILi256E16rocblas_bfloat16PKS0_PS0_EviT0_lT1_llT2_lli.has_recursion, 0
	.set _ZL26rocblas_haxpy_mod_8_kernelILi256E16rocblas_bfloat16PKS0_PS0_EviT0_lT1_llT2_lli.has_indirect_call, 0
	.section	.AMDGPU.csdata,"",@progbits
; Kernel info:
; codeLenInByte = 424
; TotalNumSgprs: 22
; NumVgprs: 5
; ScratchSize: 0
; MemoryBound: 0
; FloatMode: 240
; IeeeMode: 1
; LDSByteSize: 0 bytes/workgroup (compile time only)
; SGPRBlocks: 2
; VGPRBlocks: 1
; NumSGPRsForWavesPerEU: 22
; NumVGPRsForWavesPerEU: 5
; Occupancy: 10
; WaveLimiterHint : 0
; COMPUTE_PGM_RSRC2:SCRATCH_EN: 0
; COMPUTE_PGM_RSRC2:USER_SGPR: 6
; COMPUTE_PGM_RSRC2:TRAP_HANDLER: 0
; COMPUTE_PGM_RSRC2:TGID_X_EN: 1
; COMPUTE_PGM_RSRC2:TGID_Y_EN: 0
; COMPUTE_PGM_RSRC2:TGID_Z_EN: 1
; COMPUTE_PGM_RSRC2:TIDIG_COMP_CNT: 0
	.section	.text._ZL22rocblas_saxpy_2_kernelILi256EfPK16rocblas_bfloat16S2_PS0_EviT1_lT2_llT3_lli,"axG",@progbits,_ZL22rocblas_saxpy_2_kernelILi256EfPK16rocblas_bfloat16S2_PS0_EviT1_lT2_llT3_lli,comdat
	.globl	_ZL22rocblas_saxpy_2_kernelILi256EfPK16rocblas_bfloat16S2_PS0_EviT1_lT2_llT3_lli ; -- Begin function _ZL22rocblas_saxpy_2_kernelILi256EfPK16rocblas_bfloat16S2_PS0_EviT1_lT2_llT3_lli
	.p2align	8
	.type	_ZL22rocblas_saxpy_2_kernelILi256EfPK16rocblas_bfloat16S2_PS0_EviT1_lT2_llT3_lli,@function
_ZL22rocblas_saxpy_2_kernelILi256EfPK16rocblas_bfloat16S2_PS0_EviT1_lT2_llT3_lli: ; @_ZL22rocblas_saxpy_2_kernelILi256EfPK16rocblas_bfloat16S2_PS0_EviT1_lT2_llT3_lli
; %bb.0:
	s_load_dwordx4 s[0:3], s[4:5], 0x8
	v_mov_b32_e32 v1, 0
	s_waitcnt lgkmcnt(0)
	s_mul_i32 s3, s3, s7
	s_mul_hi_u32 s8, s2, s7
	s_add_i32 s3, s8, s3
	s_mul_i32 s2, s2, s7
	s_lshl_b64 s[2:3], s[2:3], 1
	s_add_u32 s0, s0, s2
	s_addc_u32 s1, s1, s3
	global_load_ushort v8, v1, s[0:1]
	s_waitcnt vmcnt(0)
	v_and_b32_e32 v2, 0x7fff, v8
	v_cmp_eq_u32_e32 vcc, 0, v2
	s_cbranch_vccnz .LBB96_29
; %bb.1:
	s_load_dwordx2 s[10:11], s[4:5], 0x30
	s_load_dwordx4 s[0:3], s[4:5], 0x20
	s_load_dwordx2 s[16:17], s[4:5], 0x18
	s_load_dword s8, s[4:5], 0x0
	s_load_dwordx4 s[12:15], s[4:5], 0x38
	v_lshlrev_b32_e32 v0, 1, v0
	s_waitcnt lgkmcnt(0)
	s_mul_i32 s3, s3, s7
	s_mul_hi_u32 s4, s2, s7
	s_add_i32 s3, s4, s3
	s_mul_i32 s2, s2, s7
	s_lshl_b64 s[2:3], s[2:3], 1
	s_add_u32 s2, s16, s2
	s_addc_u32 s3, s17, s3
	s_lshl_b64 s[0:1], s[0:1], 1
	v_lshl_or_b32 v0, s6, 9, v0
	s_add_u32 s6, s2, s0
	s_addc_u32 s9, s3, s1
	s_mul_i32 s0, s15, s7
	s_mul_hi_u32 s1, s14, s7
	s_add_i32 s1, s1, s0
	s_mul_i32 s0, s14, s7
	s_lshl_b64 s[0:1], s[0:1], 1
	s_add_u32 s2, s10, s0
	s_addc_u32 s3, s11, s1
	s_lshl_b64 s[0:1], s[12:13], 1
	s_add_u32 s7, s2, s0
	s_addc_u32 s10, s3, s1
	s_add_i32 s0, s8, -1
	s_ashr_i32 s1, s0, 31
	v_cmp_gt_i64_e32 vcc, s[0:1], v[0:1]
	v_lshlrev_b64 v[2:3], 1, v[0:1]
	s_and_saveexec_b64 s[2:3], vcc
	s_cbranch_execz .LBB96_19
; %bb.2:
	v_mov_b32_e32 v4, s9
	v_add_co_u32_e32 v6, vcc, s6, v2
	v_addc_co_u32_e32 v7, vcc, v4, v3, vcc
	global_load_ushort v11, v[6:7], off
	v_mov_b32_e32 v5, s10
	v_add_co_u32_e32 v4, vcc, s7, v2
	v_addc_co_u32_e32 v5, vcc, v5, v3, vcc
	global_load_ushort v10, v[4:5], off
	v_mov_b32_e32 v9, 16
	v_lshlrev_b32_sdwa v9, v9, v8 dst_sel:DWORD dst_unused:UNUSED_PAD src0_sel:DWORD src1_sel:WORD_0
	s_mov_b32 s4, 0x7f800000
	s_waitcnt vmcnt(1)
	v_lshlrev_b32_e32 v11, 16, v11
	v_mul_f32_e32 v11, v9, v11
	v_and_b32_e32 v12, 0x7f800000, v11
	v_cmp_ne_u32_e32 vcc, s4, v12
                                        ; implicit-def: $vgpr12
	s_and_saveexec_b64 s[4:5], vcc
	s_xor_b64 s[4:5], exec, s[4:5]
; %bb.3:
	v_bfe_u32 v12, v11, 16, 1
	s_movk_i32 s11, 0x7fff
	v_add3_u32 v12, v11, v12, s11
                                        ; implicit-def: $vgpr11
; %bb.4:
	s_andn2_saveexec_b64 s[4:5], s[4:5]
; %bb.5:
	v_mov_b32_e32 v12, 0
	v_or_b32_e32 v13, 0x10000, v11
	v_cmp_eq_u32_sdwa vcc, v11, v12 src0_sel:WORD_0 src1_sel:DWORD
	v_cndmask_b32_e32 v12, v13, v11, vcc
; %bb.6:
	s_or_b64 exec, exec, s[4:5]
	v_and_b32_e32 v11, 0xffff0000, v12
	s_waitcnt vmcnt(0)
	v_lshlrev_b32_e32 v10, 16, v10
	v_add_f32_e32 v10, v10, v11
	s_mov_b32 s4, 0x7f800000
	v_and_b32_e32 v11, 0x7f800000, v10
	v_cmp_ne_u32_e32 vcc, s4, v11
                                        ; implicit-def: $vgpr11
	s_and_saveexec_b64 s[4:5], vcc
	s_xor_b64 s[4:5], exec, s[4:5]
; %bb.7:
	v_bfe_u32 v11, v10, 16, 1
	s_movk_i32 s11, 0x7fff
	v_add3_u32 v11, v10, v11, s11
                                        ; implicit-def: $vgpr10
; %bb.8:
	s_andn2_saveexec_b64 s[4:5], s[4:5]
; %bb.9:
	v_mov_b32_e32 v11, 0
	v_or_b32_e32 v12, 0x10000, v10
	v_cmp_eq_u32_sdwa vcc, v10, v11 src0_sel:WORD_0 src1_sel:DWORD
	v_cndmask_b32_e32 v11, v12, v10, vcc
; %bb.10:
	s_or_b64 exec, exec, s[4:5]
	global_load_ushort v12, v[6:7], off offset:2
	global_load_ushort v10, v[4:5], off offset:2
	s_mov_b32 s4, 0x7f800000
	global_store_short_d16_hi v[4:5], v11, off
	s_waitcnt vmcnt(2)
	v_lshlrev_b32_e32 v6, 16, v12
	v_mul_f32_e32 v6, v9, v6
	v_and_b32_e32 v7, 0x7f800000, v6
	v_cmp_ne_u32_e32 vcc, s4, v7
                                        ; implicit-def: $vgpr7
	s_and_saveexec_b64 s[4:5], vcc
	s_xor_b64 s[4:5], exec, s[4:5]
; %bb.11:
	v_bfe_u32 v7, v6, 16, 1
	s_movk_i32 s11, 0x7fff
	v_add3_u32 v7, v6, v7, s11
                                        ; implicit-def: $vgpr6
; %bb.12:
	s_andn2_saveexec_b64 s[4:5], s[4:5]
; %bb.13:
	v_mov_b32_e32 v7, 0
	v_or_b32_e32 v9, 0x10000, v6
	v_cmp_eq_u32_sdwa vcc, v6, v7 src0_sel:WORD_0 src1_sel:DWORD
	v_cndmask_b32_e32 v7, v9, v6, vcc
; %bb.14:
	s_or_b64 exec, exec, s[4:5]
	v_and_b32_e32 v6, 0xffff0000, v7
	s_waitcnt vmcnt(1)
	v_lshlrev_b32_e32 v7, 16, v10
	v_add_f32_e32 v6, v7, v6
	s_mov_b32 s4, 0x7f800000
	v_and_b32_e32 v7, 0x7f800000, v6
	v_cmp_ne_u32_e32 vcc, s4, v7
                                        ; implicit-def: $vgpr7
	s_and_saveexec_b64 s[4:5], vcc
	s_xor_b64 s[4:5], exec, s[4:5]
; %bb.15:
	v_bfe_u32 v7, v6, 16, 1
	s_movk_i32 s11, 0x7fff
	v_add3_u32 v7, v6, v7, s11
                                        ; implicit-def: $vgpr6
; %bb.16:
	s_andn2_saveexec_b64 s[4:5], s[4:5]
; %bb.17:
	v_mov_b32_e32 v7, 0
	v_or_b32_e32 v9, 0x10000, v6
	v_cmp_eq_u32_sdwa vcc, v6, v7 src0_sel:WORD_0 src1_sel:DWORD
	v_cndmask_b32_e32 v7, v9, v6, vcc
; %bb.18:
	s_or_b64 exec, exec, s[4:5]
	global_store_short_d16_hi v[4:5], v7, off offset:2
.LBB96_19:
	s_or_b64 exec, exec, s[2:3]
	s_bitcmp1_b32 s8, 0
	v_cmp_eq_u64_e32 vcc, s[0:1], v[0:1]
	s_cselect_b64 s[0:1], -1, 0
	s_and_b64 s[0:1], s[0:1], vcc
	s_and_saveexec_b64 s[2:3], s[0:1]
	s_cbranch_execz .LBB96_29
; %bb.20:
	v_mov_b32_e32 v1, s9
	v_add_co_u32_e32 v0, vcc, s6, v2
	v_addc_co_u32_e32 v1, vcc, v1, v3, vcc
	global_load_ushort v5, v[0:1], off
	v_mov_b32_e32 v4, s10
	v_add_co_u32_e32 v0, vcc, s7, v2
	v_addc_co_u32_e32 v1, vcc, v4, v3, vcc
	global_load_ushort v2, v[0:1], off
	v_mov_b32_e32 v3, 16
	v_lshlrev_b32_sdwa v3, v3, v8 dst_sel:DWORD dst_unused:UNUSED_PAD src0_sel:DWORD src1_sel:WORD_0
	s_mov_b32 s0, 0x7f800000
	s_waitcnt vmcnt(1)
	v_lshlrev_b32_e32 v4, 16, v5
	v_mul_f32_e32 v3, v3, v4
	v_and_b32_e32 v4, 0x7f800000, v3
	v_cmp_ne_u32_e32 vcc, s0, v4
                                        ; implicit-def: $vgpr4
	s_and_saveexec_b64 s[0:1], vcc
	s_xor_b64 s[0:1], exec, s[0:1]
; %bb.21:
	v_bfe_u32 v4, v3, 16, 1
	s_movk_i32 s2, 0x7fff
	v_add3_u32 v4, v3, v4, s2
                                        ; implicit-def: $vgpr3
; %bb.22:
	s_andn2_saveexec_b64 s[0:1], s[0:1]
; %bb.23:
	v_mov_b32_e32 v4, 0
	v_or_b32_e32 v5, 0x10000, v3
	v_cmp_eq_u32_sdwa vcc, v3, v4 src0_sel:WORD_0 src1_sel:DWORD
	v_cndmask_b32_e32 v4, v5, v3, vcc
; %bb.24:
	s_or_b64 exec, exec, s[0:1]
	v_and_b32_e32 v3, 0xffff0000, v4
	s_waitcnt vmcnt(0)
	v_lshlrev_b32_e32 v2, 16, v2
	v_add_f32_e32 v2, v2, v3
	s_mov_b32 s0, 0x7f800000
	v_and_b32_e32 v3, 0x7f800000, v2
	v_cmp_ne_u32_e32 vcc, s0, v3
                                        ; implicit-def: $vgpr3
	s_and_saveexec_b64 s[0:1], vcc
	s_xor_b64 s[0:1], exec, s[0:1]
; %bb.25:
	v_bfe_u32 v3, v2, 16, 1
	s_movk_i32 s2, 0x7fff
	v_add3_u32 v3, v2, v3, s2
                                        ; implicit-def: $vgpr2
; %bb.26:
	s_andn2_saveexec_b64 s[0:1], s[0:1]
; %bb.27:
	v_mov_b32_e32 v3, 0
	v_or_b32_e32 v4, 0x10000, v2
	v_cmp_eq_u32_sdwa vcc, v2, v3 src0_sel:WORD_0 src1_sel:DWORD
	v_cndmask_b32_e32 v3, v4, v2, vcc
; %bb.28:
	s_or_b64 exec, exec, s[0:1]
	global_store_short_d16_hi v[0:1], v3, off
.LBB96_29:
	s_endpgm
	.section	.rodata,"a",@progbits
	.p2align	6, 0x0
	.amdhsa_kernel _ZL22rocblas_saxpy_2_kernelILi256EfPK16rocblas_bfloat16S2_PS0_EviT1_lT2_llT3_lli
		.amdhsa_group_segment_fixed_size 0
		.amdhsa_private_segment_fixed_size 0
		.amdhsa_kernarg_size 76
		.amdhsa_user_sgpr_count 6
		.amdhsa_user_sgpr_private_segment_buffer 1
		.amdhsa_user_sgpr_dispatch_ptr 0
		.amdhsa_user_sgpr_queue_ptr 0
		.amdhsa_user_sgpr_kernarg_segment_ptr 1
		.amdhsa_user_sgpr_dispatch_id 0
		.amdhsa_user_sgpr_flat_scratch_init 0
		.amdhsa_user_sgpr_private_segment_size 0
		.amdhsa_uses_dynamic_stack 0
		.amdhsa_system_sgpr_private_segment_wavefront_offset 0
		.amdhsa_system_sgpr_workgroup_id_x 1
		.amdhsa_system_sgpr_workgroup_id_y 0
		.amdhsa_system_sgpr_workgroup_id_z 1
		.amdhsa_system_sgpr_workgroup_info 0
		.amdhsa_system_vgpr_workitem_id 0
		.amdhsa_next_free_vgpr 14
		.amdhsa_next_free_sgpr 18
		.amdhsa_reserve_vcc 1
		.amdhsa_reserve_flat_scratch 0
		.amdhsa_float_round_mode_32 0
		.amdhsa_float_round_mode_16_64 0
		.amdhsa_float_denorm_mode_32 3
		.amdhsa_float_denorm_mode_16_64 3
		.amdhsa_dx10_clamp 1
		.amdhsa_ieee_mode 1
		.amdhsa_fp16_overflow 0
		.amdhsa_exception_fp_ieee_invalid_op 0
		.amdhsa_exception_fp_denorm_src 0
		.amdhsa_exception_fp_ieee_div_zero 0
		.amdhsa_exception_fp_ieee_overflow 0
		.amdhsa_exception_fp_ieee_underflow 0
		.amdhsa_exception_fp_ieee_inexact 0
		.amdhsa_exception_int_div_zero 0
	.end_amdhsa_kernel
	.section	.text._ZL22rocblas_saxpy_2_kernelILi256EfPK16rocblas_bfloat16S2_PS0_EviT1_lT2_llT3_lli,"axG",@progbits,_ZL22rocblas_saxpy_2_kernelILi256EfPK16rocblas_bfloat16S2_PS0_EviT1_lT2_llT3_lli,comdat
.Lfunc_end96:
	.size	_ZL22rocblas_saxpy_2_kernelILi256EfPK16rocblas_bfloat16S2_PS0_EviT1_lT2_llT3_lli, .Lfunc_end96-_ZL22rocblas_saxpy_2_kernelILi256EfPK16rocblas_bfloat16S2_PS0_EviT1_lT2_llT3_lli
                                        ; -- End function
	.set _ZL22rocblas_saxpy_2_kernelILi256EfPK16rocblas_bfloat16S2_PS0_EviT1_lT2_llT3_lli.num_vgpr, 14
	.set _ZL22rocblas_saxpy_2_kernelILi256EfPK16rocblas_bfloat16S2_PS0_EviT1_lT2_llT3_lli.num_agpr, 0
	.set _ZL22rocblas_saxpy_2_kernelILi256EfPK16rocblas_bfloat16S2_PS0_EviT1_lT2_llT3_lli.numbered_sgpr, 18
	.set _ZL22rocblas_saxpy_2_kernelILi256EfPK16rocblas_bfloat16S2_PS0_EviT1_lT2_llT3_lli.num_named_barrier, 0
	.set _ZL22rocblas_saxpy_2_kernelILi256EfPK16rocblas_bfloat16S2_PS0_EviT1_lT2_llT3_lli.private_seg_size, 0
	.set _ZL22rocblas_saxpy_2_kernelILi256EfPK16rocblas_bfloat16S2_PS0_EviT1_lT2_llT3_lli.uses_vcc, 1
	.set _ZL22rocblas_saxpy_2_kernelILi256EfPK16rocblas_bfloat16S2_PS0_EviT1_lT2_llT3_lli.uses_flat_scratch, 0
	.set _ZL22rocblas_saxpy_2_kernelILi256EfPK16rocblas_bfloat16S2_PS0_EviT1_lT2_llT3_lli.has_dyn_sized_stack, 0
	.set _ZL22rocblas_saxpy_2_kernelILi256EfPK16rocblas_bfloat16S2_PS0_EviT1_lT2_llT3_lli.has_recursion, 0
	.set _ZL22rocblas_saxpy_2_kernelILi256EfPK16rocblas_bfloat16S2_PS0_EviT1_lT2_llT3_lli.has_indirect_call, 0
	.section	.AMDGPU.csdata,"",@progbits
; Kernel info:
; codeLenInByte = 988
; TotalNumSgprs: 22
; NumVgprs: 14
; ScratchSize: 0
; MemoryBound: 0
; FloatMode: 240
; IeeeMode: 1
; LDSByteSize: 0 bytes/workgroup (compile time only)
; SGPRBlocks: 2
; VGPRBlocks: 3
; NumSGPRsForWavesPerEU: 22
; NumVGPRsForWavesPerEU: 14
; Occupancy: 10
; WaveLimiterHint : 0
; COMPUTE_PGM_RSRC2:SCRATCH_EN: 0
; COMPUTE_PGM_RSRC2:USER_SGPR: 6
; COMPUTE_PGM_RSRC2:TRAP_HANDLER: 0
; COMPUTE_PGM_RSRC2:TGID_X_EN: 1
; COMPUTE_PGM_RSRC2:TGID_Y_EN: 0
; COMPUTE_PGM_RSRC2:TGID_Z_EN: 1
; COMPUTE_PGM_RSRC2:TIDIG_COMP_CNT: 0
	.section	.text._ZL22rocblas_saxpy_2_kernelILi256Ef16rocblas_bfloat16PKS0_PS0_EviT1_lT2_llT3_lli,"axG",@progbits,_ZL22rocblas_saxpy_2_kernelILi256Ef16rocblas_bfloat16PKS0_PS0_EviT1_lT2_llT3_lli,comdat
	.globl	_ZL22rocblas_saxpy_2_kernelILi256Ef16rocblas_bfloat16PKS0_PS0_EviT1_lT2_llT3_lli ; -- Begin function _ZL22rocblas_saxpy_2_kernelILi256Ef16rocblas_bfloat16PKS0_PS0_EviT1_lT2_llT3_lli
	.p2align	8
	.type	_ZL22rocblas_saxpy_2_kernelILi256Ef16rocblas_bfloat16PKS0_PS0_EviT1_lT2_llT3_lli,@function
_ZL22rocblas_saxpy_2_kernelILi256Ef16rocblas_bfloat16PKS0_PS0_EviT1_lT2_llT3_lli: ; @_ZL22rocblas_saxpy_2_kernelILi256Ef16rocblas_bfloat16PKS0_PS0_EviT1_lT2_llT3_lli
; %bb.0:
	s_load_dwordx2 s[0:1], s[4:5], 0x0
	s_waitcnt lgkmcnt(0)
	s_and_b32 s2, s1, 0x7fff
	s_cmp_eq_u32 s2, 0
	s_cbranch_scc1 .LBB97_29
; %bb.1:
	s_load_dwordx2 s[2:3], s[4:5], 0x10
	s_load_dwordx4 s[8:11], s[4:5], 0x18
	s_load_dwordx2 s[16:17], s[4:5], 0x28
	s_load_dwordx4 s[12:15], s[4:5], 0x30
	v_lshlrev_b32_e32 v0, 1, v0
	v_lshl_or_b32 v0, s6, 9, v0
	s_waitcnt lgkmcnt(0)
	s_mul_i32 s4, s11, s7
	s_mul_hi_u32 s5, s10, s7
	s_add_i32 s5, s5, s4
	s_mul_i32 s4, s10, s7
	s_lshl_b64 s[4:5], s[4:5], 1
	s_add_u32 s4, s2, s4
	s_addc_u32 s5, s3, s5
	s_lshl_b64 s[2:3], s[8:9], 1
	s_add_u32 s8, s4, s2
	s_addc_u32 s9, s5, s3
	s_mul_i32 s2, s15, s7
	s_mul_hi_u32 s3, s14, s7
	s_add_i32 s3, s3, s2
	s_mul_i32 s2, s14, s7
	s_lshl_b64 s[2:3], s[2:3], 1
	s_add_u32 s4, s16, s2
	s_addc_u32 s5, s17, s3
	s_lshl_b64 s[2:3], s[12:13], 1
	s_add_u32 s10, s4, s2
	s_addc_u32 s11, s5, s3
	s_add_i32 s2, s0, -1
	v_mov_b32_e32 v1, 0
	s_ashr_i32 s3, s2, 31
	v_cmp_gt_i64_e32 vcc, s[2:3], v[0:1]
	v_lshlrev_b64 v[2:3], 1, v[0:1]
	s_and_saveexec_b64 s[4:5], vcc
	s_cbranch_execz .LBB97_19
; %bb.2:
	v_mov_b32_e32 v4, s9
	v_add_co_u32_e32 v6, vcc, s8, v2
	v_addc_co_u32_e32 v7, vcc, v4, v3, vcc
	global_load_ushort v9, v[6:7], off
	v_mov_b32_e32 v5, s11
	v_add_co_u32_e32 v4, vcc, s10, v2
	v_addc_co_u32_e32 v5, vcc, v5, v3, vcc
	global_load_ushort v8, v[4:5], off
	s_lshl_b32 s12, s1, 16
	s_mov_b32 s6, 0x7f800000
	s_waitcnt vmcnt(1)
	v_lshlrev_b32_e32 v9, 16, v9
	v_mul_f32_e32 v9, s12, v9
	v_and_b32_e32 v10, 0x7f800000, v9
	v_cmp_ne_u32_e32 vcc, s6, v10
                                        ; implicit-def: $vgpr10
	s_and_saveexec_b64 s[6:7], vcc
	s_xor_b64 s[6:7], exec, s[6:7]
; %bb.3:
	v_bfe_u32 v10, v9, 16, 1
	s_movk_i32 s13, 0x7fff
	v_add3_u32 v10, v9, v10, s13
                                        ; implicit-def: $vgpr9
; %bb.4:
	s_andn2_saveexec_b64 s[6:7], s[6:7]
; %bb.5:
	v_mov_b32_e32 v10, 0
	v_or_b32_e32 v11, 0x10000, v9
	v_cmp_eq_u32_sdwa vcc, v9, v10 src0_sel:WORD_0 src1_sel:DWORD
	v_cndmask_b32_e32 v10, v11, v9, vcc
; %bb.6:
	s_or_b64 exec, exec, s[6:7]
	v_and_b32_e32 v9, 0xffff0000, v10
	s_waitcnt vmcnt(0)
	v_lshlrev_b32_e32 v8, 16, v8
	v_add_f32_e32 v8, v8, v9
	s_mov_b32 s6, 0x7f800000
	v_and_b32_e32 v9, 0x7f800000, v8
	v_cmp_ne_u32_e32 vcc, s6, v9
                                        ; implicit-def: $vgpr9
	s_and_saveexec_b64 s[6:7], vcc
	s_xor_b64 s[6:7], exec, s[6:7]
; %bb.7:
	v_bfe_u32 v9, v8, 16, 1
	s_movk_i32 s13, 0x7fff
	v_add3_u32 v9, v8, v9, s13
                                        ; implicit-def: $vgpr8
; %bb.8:
	s_andn2_saveexec_b64 s[6:7], s[6:7]
; %bb.9:
	v_mov_b32_e32 v9, 0
	v_or_b32_e32 v10, 0x10000, v8
	v_cmp_eq_u32_sdwa vcc, v8, v9 src0_sel:WORD_0 src1_sel:DWORD
	v_cndmask_b32_e32 v9, v10, v8, vcc
; %bb.10:
	s_or_b64 exec, exec, s[6:7]
	global_load_ushort v10, v[6:7], off offset:2
	global_load_ushort v8, v[4:5], off offset:2
	s_mov_b32 s6, 0x7f800000
	global_store_short_d16_hi v[4:5], v9, off
	s_waitcnt vmcnt(2)
	v_lshlrev_b32_e32 v6, 16, v10
	v_mul_f32_e32 v6, s12, v6
	v_and_b32_e32 v7, 0x7f800000, v6
	v_cmp_ne_u32_e32 vcc, s6, v7
                                        ; implicit-def: $vgpr7
	s_and_saveexec_b64 s[6:7], vcc
	s_xor_b64 s[6:7], exec, s[6:7]
; %bb.11:
	v_bfe_u32 v7, v6, 16, 1
	s_movk_i32 s12, 0x7fff
	v_add3_u32 v7, v6, v7, s12
                                        ; implicit-def: $vgpr6
; %bb.12:
	s_andn2_saveexec_b64 s[6:7], s[6:7]
; %bb.13:
	v_mov_b32_e32 v7, 0
	v_or_b32_e32 v9, 0x10000, v6
	v_cmp_eq_u32_sdwa vcc, v6, v7 src0_sel:WORD_0 src1_sel:DWORD
	v_cndmask_b32_e32 v7, v9, v6, vcc
; %bb.14:
	s_or_b64 exec, exec, s[6:7]
	v_and_b32_e32 v6, 0xffff0000, v7
	s_waitcnt vmcnt(1)
	v_lshlrev_b32_e32 v7, 16, v8
	v_add_f32_e32 v6, v7, v6
	s_mov_b32 s6, 0x7f800000
	v_and_b32_e32 v7, 0x7f800000, v6
	v_cmp_ne_u32_e32 vcc, s6, v7
                                        ; implicit-def: $vgpr7
	s_and_saveexec_b64 s[6:7], vcc
	s_xor_b64 s[6:7], exec, s[6:7]
; %bb.15:
	v_bfe_u32 v7, v6, 16, 1
	s_movk_i32 s12, 0x7fff
	v_add3_u32 v7, v6, v7, s12
                                        ; implicit-def: $vgpr6
; %bb.16:
	s_andn2_saveexec_b64 s[6:7], s[6:7]
; %bb.17:
	v_mov_b32_e32 v7, 0
	v_or_b32_e32 v8, 0x10000, v6
	v_cmp_eq_u32_sdwa vcc, v6, v7 src0_sel:WORD_0 src1_sel:DWORD
	v_cndmask_b32_e32 v7, v8, v6, vcc
; %bb.18:
	s_or_b64 exec, exec, s[6:7]
	global_store_short_d16_hi v[4:5], v7, off offset:2
.LBB97_19:
	s_or_b64 exec, exec, s[4:5]
	s_bitcmp1_b32 s0, 0
	v_cmp_eq_u64_e32 vcc, s[2:3], v[0:1]
	s_cselect_b64 s[2:3], -1, 0
	s_and_b64 s[2:3], s[2:3], vcc
	s_and_saveexec_b64 s[4:5], s[2:3]
	s_cbranch_execz .LBB97_29
; %bb.20:
	v_mov_b32_e32 v1, s9
	v_add_co_u32_e32 v0, vcc, s8, v2
	v_addc_co_u32_e32 v1, vcc, v1, v3, vcc
	global_load_ushort v5, v[0:1], off
	v_mov_b32_e32 v4, s11
	v_add_co_u32_e32 v0, vcc, s10, v2
	v_addc_co_u32_e32 v1, vcc, v4, v3, vcc
	global_load_ushort v2, v[0:1], off
	s_lshl_b32 s0, s1, 16
	s_waitcnt vmcnt(1)
	v_lshlrev_b32_e32 v3, 16, v5
	v_mul_f32_e32 v3, s0, v3
	s_mov_b32 s0, 0x7f800000
	v_and_b32_e32 v4, 0x7f800000, v3
	v_cmp_ne_u32_e32 vcc, s0, v4
                                        ; implicit-def: $vgpr4
	s_and_saveexec_b64 s[0:1], vcc
	s_xor_b64 s[0:1], exec, s[0:1]
; %bb.21:
	v_bfe_u32 v4, v3, 16, 1
	s_movk_i32 s2, 0x7fff
	v_add3_u32 v4, v3, v4, s2
                                        ; implicit-def: $vgpr3
; %bb.22:
	s_andn2_saveexec_b64 s[0:1], s[0:1]
; %bb.23:
	v_mov_b32_e32 v4, 0
	v_or_b32_e32 v5, 0x10000, v3
	v_cmp_eq_u32_sdwa vcc, v3, v4 src0_sel:WORD_0 src1_sel:DWORD
	v_cndmask_b32_e32 v4, v5, v3, vcc
; %bb.24:
	s_or_b64 exec, exec, s[0:1]
	v_and_b32_e32 v3, 0xffff0000, v4
	s_waitcnt vmcnt(0)
	v_lshlrev_b32_e32 v2, 16, v2
	v_add_f32_e32 v2, v2, v3
	s_mov_b32 s0, 0x7f800000
	v_and_b32_e32 v3, 0x7f800000, v2
	v_cmp_ne_u32_e32 vcc, s0, v3
                                        ; implicit-def: $vgpr3
	s_and_saveexec_b64 s[0:1], vcc
	s_xor_b64 s[0:1], exec, s[0:1]
; %bb.25:
	v_bfe_u32 v3, v2, 16, 1
	s_movk_i32 s2, 0x7fff
	v_add3_u32 v3, v2, v3, s2
                                        ; implicit-def: $vgpr2
; %bb.26:
	s_andn2_saveexec_b64 s[0:1], s[0:1]
; %bb.27:
	v_mov_b32_e32 v3, 0
	v_or_b32_e32 v4, 0x10000, v2
	v_cmp_eq_u32_sdwa vcc, v2, v3 src0_sel:WORD_0 src1_sel:DWORD
	v_cndmask_b32_e32 v3, v4, v2, vcc
; %bb.28:
	s_or_b64 exec, exec, s[0:1]
	global_store_short_d16_hi v[0:1], v3, off
.LBB97_29:
	s_endpgm
	.section	.rodata,"a",@progbits
	.p2align	6, 0x0
	.amdhsa_kernel _ZL22rocblas_saxpy_2_kernelILi256Ef16rocblas_bfloat16PKS0_PS0_EviT1_lT2_llT3_lli
		.amdhsa_group_segment_fixed_size 0
		.amdhsa_private_segment_fixed_size 0
		.amdhsa_kernarg_size 68
		.amdhsa_user_sgpr_count 6
		.amdhsa_user_sgpr_private_segment_buffer 1
		.amdhsa_user_sgpr_dispatch_ptr 0
		.amdhsa_user_sgpr_queue_ptr 0
		.amdhsa_user_sgpr_kernarg_segment_ptr 1
		.amdhsa_user_sgpr_dispatch_id 0
		.amdhsa_user_sgpr_flat_scratch_init 0
		.amdhsa_user_sgpr_private_segment_size 0
		.amdhsa_uses_dynamic_stack 0
		.amdhsa_system_sgpr_private_segment_wavefront_offset 0
		.amdhsa_system_sgpr_workgroup_id_x 1
		.amdhsa_system_sgpr_workgroup_id_y 0
		.amdhsa_system_sgpr_workgroup_id_z 1
		.amdhsa_system_sgpr_workgroup_info 0
		.amdhsa_system_vgpr_workitem_id 0
		.amdhsa_next_free_vgpr 12
		.amdhsa_next_free_sgpr 18
		.amdhsa_reserve_vcc 1
		.amdhsa_reserve_flat_scratch 0
		.amdhsa_float_round_mode_32 0
		.amdhsa_float_round_mode_16_64 0
		.amdhsa_float_denorm_mode_32 3
		.amdhsa_float_denorm_mode_16_64 3
		.amdhsa_dx10_clamp 1
		.amdhsa_ieee_mode 1
		.amdhsa_fp16_overflow 0
		.amdhsa_exception_fp_ieee_invalid_op 0
		.amdhsa_exception_fp_denorm_src 0
		.amdhsa_exception_fp_ieee_div_zero 0
		.amdhsa_exception_fp_ieee_overflow 0
		.amdhsa_exception_fp_ieee_underflow 0
		.amdhsa_exception_fp_ieee_inexact 0
		.amdhsa_exception_int_div_zero 0
	.end_amdhsa_kernel
	.section	.text._ZL22rocblas_saxpy_2_kernelILi256Ef16rocblas_bfloat16PKS0_PS0_EviT1_lT2_llT3_lli,"axG",@progbits,_ZL22rocblas_saxpy_2_kernelILi256Ef16rocblas_bfloat16PKS0_PS0_EviT1_lT2_llT3_lli,comdat
.Lfunc_end97:
	.size	_ZL22rocblas_saxpy_2_kernelILi256Ef16rocblas_bfloat16PKS0_PS0_EviT1_lT2_llT3_lli, .Lfunc_end97-_ZL22rocblas_saxpy_2_kernelILi256Ef16rocblas_bfloat16PKS0_PS0_EviT1_lT2_llT3_lli
                                        ; -- End function
	.set _ZL22rocblas_saxpy_2_kernelILi256Ef16rocblas_bfloat16PKS0_PS0_EviT1_lT2_llT3_lli.num_vgpr, 12
	.set _ZL22rocblas_saxpy_2_kernelILi256Ef16rocblas_bfloat16PKS0_PS0_EviT1_lT2_llT3_lli.num_agpr, 0
	.set _ZL22rocblas_saxpy_2_kernelILi256Ef16rocblas_bfloat16PKS0_PS0_EviT1_lT2_llT3_lli.numbered_sgpr, 18
	.set _ZL22rocblas_saxpy_2_kernelILi256Ef16rocblas_bfloat16PKS0_PS0_EviT1_lT2_llT3_lli.num_named_barrier, 0
	.set _ZL22rocblas_saxpy_2_kernelILi256Ef16rocblas_bfloat16PKS0_PS0_EviT1_lT2_llT3_lli.private_seg_size, 0
	.set _ZL22rocblas_saxpy_2_kernelILi256Ef16rocblas_bfloat16PKS0_PS0_EviT1_lT2_llT3_lli.uses_vcc, 1
	.set _ZL22rocblas_saxpy_2_kernelILi256Ef16rocblas_bfloat16PKS0_PS0_EviT1_lT2_llT3_lli.uses_flat_scratch, 0
	.set _ZL22rocblas_saxpy_2_kernelILi256Ef16rocblas_bfloat16PKS0_PS0_EviT1_lT2_llT3_lli.has_dyn_sized_stack, 0
	.set _ZL22rocblas_saxpy_2_kernelILi256Ef16rocblas_bfloat16PKS0_PS0_EviT1_lT2_llT3_lli.has_recursion, 0
	.set _ZL22rocblas_saxpy_2_kernelILi256Ef16rocblas_bfloat16PKS0_PS0_EviT1_lT2_llT3_lli.has_indirect_call, 0
	.section	.AMDGPU.csdata,"",@progbits
; Kernel info:
; codeLenInByte = 924
; TotalNumSgprs: 22
; NumVgprs: 12
; ScratchSize: 0
; MemoryBound: 0
; FloatMode: 240
; IeeeMode: 1
; LDSByteSize: 0 bytes/workgroup (compile time only)
; SGPRBlocks: 2
; VGPRBlocks: 2
; NumSGPRsForWavesPerEU: 22
; NumVGPRsForWavesPerEU: 12
; Occupancy: 10
; WaveLimiterHint : 0
; COMPUTE_PGM_RSRC2:SCRATCH_EN: 0
; COMPUTE_PGM_RSRC2:USER_SGPR: 6
; COMPUTE_PGM_RSRC2:TRAP_HANDLER: 0
; COMPUTE_PGM_RSRC2:TGID_X_EN: 1
; COMPUTE_PGM_RSRC2:TGID_Y_EN: 0
; COMPUTE_PGM_RSRC2:TGID_Z_EN: 1
; COMPUTE_PGM_RSRC2:TIDIG_COMP_CNT: 0
	.section	.text._ZL27rocblas_axpy_kernel_batchedIiLi128ELi8EfPK16rocblas_bfloat16S2_PS0_EviT3_lT4_lT_lT5_lS6_li,"axG",@progbits,_ZL27rocblas_axpy_kernel_batchedIiLi128ELi8EfPK16rocblas_bfloat16S2_PS0_EviT3_lT4_lT_lT5_lS6_li,comdat
	.globl	_ZL27rocblas_axpy_kernel_batchedIiLi128ELi8EfPK16rocblas_bfloat16S2_PS0_EviT3_lT4_lT_lT5_lS6_li ; -- Begin function _ZL27rocblas_axpy_kernel_batchedIiLi128ELi8EfPK16rocblas_bfloat16S2_PS0_EviT3_lT4_lT_lT5_lS6_li
	.p2align	8
	.type	_ZL27rocblas_axpy_kernel_batchedIiLi128ELi8EfPK16rocblas_bfloat16S2_PS0_EviT3_lT4_lT_lT5_lS6_li,@function
_ZL27rocblas_axpy_kernel_batchedIiLi128ELi8EfPK16rocblas_bfloat16S2_PS0_EviT3_lT4_lT_lT5_lS6_li: ; @_ZL27rocblas_axpy_kernel_batchedIiLi128ELi8EfPK16rocblas_bfloat16S2_PS0_EviT3_lT4_lT_lT5_lS6_li
; %bb.0:
	s_load_dword s0, s[4:5], 0x0
	v_lshl_add_u32 v2, s6, 7, v0
	v_mov_b32_e32 v3, 0
	s_waitcnt lgkmcnt(0)
	s_ashr_i32 s1, s0, 31
	v_cmp_gt_i64_e32 vcc, s[0:1], v[2:3]
	s_and_saveexec_b64 s[0:1], vcc
	s_cbranch_execz .LBB98_45
; %bb.1:
	s_load_dword s20, s[4:5], 0x28
	s_load_dwordx8 s[8:15], s[4:5], 0x8
	s_load_dwordx4 s[0:3], s[4:5], 0x30
	s_load_dwordx2 s[18:19], s[4:5], 0x40
	s_load_dword s22, s[4:5], 0x48
	s_load_dwordx2 s[16:17], s[4:5], 0x50
	s_load_dword s6, s[4:5], 0x58
	s_waitcnt lgkmcnt(0)
	v_mad_u64_u32 v[3:4], s[4:5], s20, v2, 0
	v_mad_u64_u32 v[7:8], s[4:5], s22, v2, 0
	s_ashr_i32 s21, s20, 31
	v_mov_b32_e32 v0, v4
	v_mad_u64_u32 v[4:5], s[4:5], s21, v2, v[0:1]
	s_ashr_i32 s20, s22, 31
	v_mov_b32_e32 v0, v8
	v_mad_u64_u32 v[5:6], s[4:5], s20, v2, v[0:1]
	v_lshlrev_b32_e32 v0, 2, v1
	s_lshl_b64 s[4:5], s[14:15], 1
	v_lshl_add_u32 v6, s7, 5, v0
	s_add_u32 s4, s12, s4
	v_lshlrev_b64 v[0:1], 1, v[3:4]
	s_addc_u32 s5, s13, s5
	v_mov_b32_e32 v8, v5
	v_mov_b32_e32 v2, s5
	v_add_co_u32_e32 v4, vcc, s4, v0
	s_lshl_b64 s[4:5], s[18:19], 1
	v_addc_co_u32_e32 v5, vcc, v2, v1, vcc
	s_add_u32 s2, s2, s4
	v_lshlrev_b64 v[0:1], 1, v[7:8]
	s_addc_u32 s3, s3, s5
	v_mov_b32_e32 v3, s3
	v_add_co_u32_e32 v2, vcc, s2, v0
	v_addc_co_u32_e32 v3, vcc, v3, v1, vcc
	v_cmp_gt_u32_e32 vcc, s6, v6
	s_and_saveexec_b64 s[2:3], vcc
	s_cbranch_execz .LBB98_12
; %bb.2:
	v_mad_u64_u32 v[0:1], s[4:5], s10, v6, 0
	v_mad_u64_u32 v[7:8], s[4:5], s11, v6, v[1:2]
	v_mov_b32_e32 v8, s9
	v_mov_b32_e32 v1, v7
	v_lshlrev_b64 v[0:1], 1, v[0:1]
	v_add_co_u32_e32 v0, vcc, s8, v0
	v_addc_co_u32_e32 v1, vcc, v8, v1, vcc
	global_load_ushort v8, v[0:1], off
	s_waitcnt vmcnt(0)
	v_and_b32_e32 v0, 0x7fff, v8
	v_cmp_ne_u16_e32 vcc, 0, v0
	s_and_b64 exec, exec, vcc
	s_cbranch_execz .LBB98_12
; %bb.3:
	v_mad_u64_u32 v[0:1], s[4:5], s0, v6, 0
	v_mad_u64_u32 v[9:10], s[4:5], s16, v6, 0
	;; [unrolled: 1-line block ×3, first 2 shown]
	v_mov_b32_e32 v7, v10
	v_mov_b32_e32 v1, v11
	v_lshlrev_b64 v[0:1], 1, v[0:1]
	v_mad_u64_u32 v[10:11], s[4:5], s17, v6, v[7:8]
	v_add_co_u32_e32 v0, vcc, v4, v0
	v_addc_co_u32_e32 v1, vcc, v5, v1, vcc
	v_lshlrev_b64 v[9:10], 1, v[9:10]
	global_load_ushort v11, v[0:1], off
	v_add_co_u32_e32 v0, vcc, v2, v9
	v_addc_co_u32_e32 v1, vcc, v3, v10, vcc
	global_load_ushort v7, v[0:1], off
	v_lshlrev_b32_e32 v8, 16, v8
	s_mov_b32 s4, 0x7f800000
	s_waitcnt vmcnt(1)
	v_lshlrev_b32_e32 v9, 16, v11
	v_mul_f32_e32 v8, v8, v9
	v_and_b32_e32 v9, 0x7f800000, v8
	v_cmp_ne_u32_e32 vcc, s4, v9
                                        ; implicit-def: $vgpr9
	s_and_saveexec_b64 s[4:5], vcc
	s_xor_b64 s[4:5], exec, s[4:5]
; %bb.4:
	v_bfe_u32 v9, v8, 16, 1
	s_movk_i32 s7, 0x7fff
	v_add3_u32 v9, v8, v9, s7
                                        ; implicit-def: $vgpr8
; %bb.5:
	s_andn2_saveexec_b64 s[4:5], s[4:5]
; %bb.6:
	v_mov_b32_e32 v9, 0
	v_or_b32_e32 v10, 0x10000, v8
	v_cmp_eq_u32_sdwa vcc, v8, v9 src0_sel:WORD_0 src1_sel:DWORD
	v_cndmask_b32_e32 v9, v10, v8, vcc
; %bb.7:
	s_or_b64 exec, exec, s[4:5]
	v_and_b32_e32 v8, 0xffff0000, v9
	s_waitcnt vmcnt(0)
	v_lshlrev_b32_e32 v7, 16, v7
	v_add_f32_e32 v7, v7, v8
	s_mov_b32 s4, 0x7f800000
	v_and_b32_e32 v8, 0x7f800000, v7
	v_cmp_ne_u32_e32 vcc, s4, v8
                                        ; implicit-def: $vgpr8
	s_and_saveexec_b64 s[4:5], vcc
	s_xor_b64 s[4:5], exec, s[4:5]
; %bb.8:
	v_bfe_u32 v8, v7, 16, 1
	s_movk_i32 s7, 0x7fff
	v_add3_u32 v8, v7, v8, s7
                                        ; implicit-def: $vgpr7
; %bb.9:
	s_andn2_saveexec_b64 s[4:5], s[4:5]
; %bb.10:
	v_mov_b32_e32 v8, 0
	v_or_b32_e32 v9, 0x10000, v7
	v_cmp_eq_u32_sdwa vcc, v7, v8 src0_sel:WORD_0 src1_sel:DWORD
	v_cndmask_b32_e32 v8, v9, v7, vcc
; %bb.11:
	s_or_b64 exec, exec, s[4:5]
	global_store_short_d16_hi v[0:1], v8, off
.LBB98_12:
	s_or_b64 exec, exec, s[2:3]
	v_or_b32_e32 v0, 1, v6
	v_cmp_gt_u32_e32 vcc, s6, v0
	s_and_saveexec_b64 s[2:3], vcc
	s_cbranch_execz .LBB98_23
; %bb.13:
	v_mad_u64_u32 v[7:8], s[4:5], s10, v0, 0
	v_mov_b32_e32 v1, v8
	v_mad_u64_u32 v[8:9], s[4:5], s11, v0, v[1:2]
	v_mov_b32_e32 v1, s9
	v_lshlrev_b64 v[7:8], 1, v[7:8]
	v_add_co_u32_e32 v7, vcc, s8, v7
	v_addc_co_u32_e32 v8, vcc, v1, v8, vcc
	global_load_ushort v8, v[7:8], off
	s_waitcnt vmcnt(0)
	v_and_b32_e32 v1, 0x7fff, v8
	v_cmp_ne_u16_e32 vcc, 0, v1
	s_and_b64 exec, exec, vcc
	s_cbranch_execz .LBB98_23
; %bb.14:
	v_mad_u64_u32 v[9:10], s[4:5], s0, v0, 0
	v_mad_u64_u32 v[11:12], s[4:5], s16, v0, 0
	v_mov_b32_e32 v1, v10
	v_mad_u64_u32 v[13:14], s[4:5], s1, v0, v[1:2]
	v_mov_b32_e32 v1, v12
	;; [unrolled: 2-line block ×3, first 2 shown]
	v_lshlrev_b64 v[9:10], 1, v[9:10]
	v_mov_b32_e32 v12, v0
	v_add_co_u32_e32 v9, vcc, v4, v9
	v_addc_co_u32_e32 v10, vcc, v5, v10, vcc
	v_lshlrev_b64 v[0:1], 1, v[11:12]
	global_load_ushort v9, v[9:10], off
	v_add_co_u32_e32 v0, vcc, v2, v0
	v_addc_co_u32_e32 v1, vcc, v3, v1, vcc
	global_load_ushort v7, v[0:1], off
	v_lshlrev_b32_e32 v8, 16, v8
	s_mov_b32 s4, 0x7f800000
	s_waitcnt vmcnt(1)
	v_lshlrev_b32_e32 v9, 16, v9
	v_mul_f32_e32 v8, v8, v9
	v_and_b32_e32 v9, 0x7f800000, v8
	v_cmp_ne_u32_e32 vcc, s4, v9
                                        ; implicit-def: $vgpr9
	s_and_saveexec_b64 s[4:5], vcc
	s_xor_b64 s[4:5], exec, s[4:5]
; %bb.15:
	v_bfe_u32 v9, v8, 16, 1
	s_movk_i32 s7, 0x7fff
	v_add3_u32 v9, v8, v9, s7
                                        ; implicit-def: $vgpr8
; %bb.16:
	s_andn2_saveexec_b64 s[4:5], s[4:5]
; %bb.17:
	v_mov_b32_e32 v9, 0
	v_or_b32_e32 v10, 0x10000, v8
	v_cmp_eq_u32_sdwa vcc, v8, v9 src0_sel:WORD_0 src1_sel:DWORD
	v_cndmask_b32_e32 v9, v10, v8, vcc
; %bb.18:
	s_or_b64 exec, exec, s[4:5]
	v_and_b32_e32 v8, 0xffff0000, v9
	s_waitcnt vmcnt(0)
	v_lshlrev_b32_e32 v7, 16, v7
	v_add_f32_e32 v7, v7, v8
	s_mov_b32 s4, 0x7f800000
	v_and_b32_e32 v8, 0x7f800000, v7
	v_cmp_ne_u32_e32 vcc, s4, v8
                                        ; implicit-def: $vgpr8
	s_and_saveexec_b64 s[4:5], vcc
	s_xor_b64 s[4:5], exec, s[4:5]
; %bb.19:
	v_bfe_u32 v8, v7, 16, 1
	s_movk_i32 s7, 0x7fff
	v_add3_u32 v8, v7, v8, s7
                                        ; implicit-def: $vgpr7
; %bb.20:
	s_andn2_saveexec_b64 s[4:5], s[4:5]
; %bb.21:
	v_mov_b32_e32 v8, 0
	v_or_b32_e32 v9, 0x10000, v7
	v_cmp_eq_u32_sdwa vcc, v7, v8 src0_sel:WORD_0 src1_sel:DWORD
	v_cndmask_b32_e32 v8, v9, v7, vcc
; %bb.22:
	s_or_b64 exec, exec, s[4:5]
	global_store_short_d16_hi v[0:1], v8, off
.LBB98_23:
	s_or_b64 exec, exec, s[2:3]
	v_or_b32_e32 v0, 2, v6
	v_cmp_gt_u32_e32 vcc, s6, v0
	s_and_saveexec_b64 s[2:3], vcc
	s_cbranch_execz .LBB98_34
; %bb.24:
	v_mad_u64_u32 v[7:8], s[4:5], s10, v0, 0
	v_mov_b32_e32 v1, v8
	v_mad_u64_u32 v[8:9], s[4:5], s11, v0, v[1:2]
	v_mov_b32_e32 v1, s9
	v_lshlrev_b64 v[7:8], 1, v[7:8]
	v_add_co_u32_e32 v7, vcc, s8, v7
	v_addc_co_u32_e32 v8, vcc, v1, v8, vcc
	global_load_ushort v8, v[7:8], off
	s_waitcnt vmcnt(0)
	v_and_b32_e32 v1, 0x7fff, v8
	v_cmp_ne_u16_e32 vcc, 0, v1
	s_and_b64 exec, exec, vcc
	s_cbranch_execz .LBB98_34
; %bb.25:
	v_mad_u64_u32 v[9:10], s[4:5], s0, v0, 0
	v_mad_u64_u32 v[11:12], s[4:5], s16, v0, 0
	v_mov_b32_e32 v1, v10
	v_mad_u64_u32 v[13:14], s[4:5], s1, v0, v[1:2]
	v_mov_b32_e32 v1, v12
	;; [unrolled: 2-line block ×3, first 2 shown]
	v_lshlrev_b64 v[9:10], 1, v[9:10]
	v_mov_b32_e32 v12, v0
	v_add_co_u32_e32 v9, vcc, v4, v9
	v_addc_co_u32_e32 v10, vcc, v5, v10, vcc
	v_lshlrev_b64 v[0:1], 1, v[11:12]
	global_load_ushort v9, v[9:10], off
	v_add_co_u32_e32 v0, vcc, v2, v0
	v_addc_co_u32_e32 v1, vcc, v3, v1, vcc
	global_load_ushort v7, v[0:1], off
	v_lshlrev_b32_e32 v8, 16, v8
	s_mov_b32 s4, 0x7f800000
	s_waitcnt vmcnt(1)
	v_lshlrev_b32_e32 v9, 16, v9
	v_mul_f32_e32 v8, v8, v9
	v_and_b32_e32 v9, 0x7f800000, v8
	v_cmp_ne_u32_e32 vcc, s4, v9
                                        ; implicit-def: $vgpr9
	s_and_saveexec_b64 s[4:5], vcc
	s_xor_b64 s[4:5], exec, s[4:5]
; %bb.26:
	v_bfe_u32 v9, v8, 16, 1
	s_movk_i32 s7, 0x7fff
	v_add3_u32 v9, v8, v9, s7
                                        ; implicit-def: $vgpr8
; %bb.27:
	s_andn2_saveexec_b64 s[4:5], s[4:5]
; %bb.28:
	v_mov_b32_e32 v9, 0
	v_or_b32_e32 v10, 0x10000, v8
	v_cmp_eq_u32_sdwa vcc, v8, v9 src0_sel:WORD_0 src1_sel:DWORD
	v_cndmask_b32_e32 v9, v10, v8, vcc
; %bb.29:
	s_or_b64 exec, exec, s[4:5]
	v_and_b32_e32 v8, 0xffff0000, v9
	s_waitcnt vmcnt(0)
	v_lshlrev_b32_e32 v7, 16, v7
	v_add_f32_e32 v7, v7, v8
	s_mov_b32 s4, 0x7f800000
	v_and_b32_e32 v8, 0x7f800000, v7
	v_cmp_ne_u32_e32 vcc, s4, v8
                                        ; implicit-def: $vgpr8
	s_and_saveexec_b64 s[4:5], vcc
	s_xor_b64 s[4:5], exec, s[4:5]
; %bb.30:
	v_bfe_u32 v8, v7, 16, 1
	s_movk_i32 s7, 0x7fff
	v_add3_u32 v8, v7, v8, s7
                                        ; implicit-def: $vgpr7
; %bb.31:
	s_andn2_saveexec_b64 s[4:5], s[4:5]
; %bb.32:
	v_mov_b32_e32 v8, 0
	v_or_b32_e32 v9, 0x10000, v7
	v_cmp_eq_u32_sdwa vcc, v7, v8 src0_sel:WORD_0 src1_sel:DWORD
	v_cndmask_b32_e32 v8, v9, v7, vcc
; %bb.33:
	s_or_b64 exec, exec, s[4:5]
	global_store_short_d16_hi v[0:1], v8, off
.LBB98_34:
	s_or_b64 exec, exec, s[2:3]
	v_or_b32_e32 v0, 3, v6
	v_cmp_gt_u32_e32 vcc, s6, v0
	s_and_b64 exec, exec, vcc
	s_cbranch_execz .LBB98_45
; %bb.35:
	v_mad_u64_u32 v[6:7], s[2:3], s10, v0, 0
	v_mov_b32_e32 v1, v7
	v_mad_u64_u32 v[7:8], s[2:3], s11, v0, v[1:2]
	v_mov_b32_e32 v1, s9
	v_lshlrev_b64 v[6:7], 1, v[6:7]
	v_add_co_u32_e32 v6, vcc, s8, v6
	v_addc_co_u32_e32 v7, vcc, v1, v7, vcc
	global_load_ushort v6, v[6:7], off
	s_waitcnt vmcnt(0)
	v_and_b32_e32 v1, 0x7fff, v6
	v_cmp_ne_u16_e32 vcc, 0, v1
	s_and_b64 exec, exec, vcc
	s_cbranch_execz .LBB98_45
; %bb.36:
	v_mad_u64_u32 v[7:8], s[2:3], s0, v0, 0
	v_mad_u64_u32 v[9:10], s[2:3], s16, v0, 0
	v_mov_b32_e32 v1, v8
	v_mad_u64_u32 v[11:12], s[0:1], s1, v0, v[1:2]
	v_mov_b32_e32 v1, v10
	;; [unrolled: 2-line block ×3, first 2 shown]
	v_lshlrev_b64 v[7:8], 1, v[7:8]
	v_mov_b32_e32 v10, v0
	v_add_co_u32_e32 v4, vcc, v4, v7
	v_addc_co_u32_e32 v5, vcc, v5, v8, vcc
	v_lshlrev_b64 v[0:1], 1, v[9:10]
	global_load_ushort v4, v[4:5], off
	v_add_co_u32_e32 v0, vcc, v2, v0
	v_addc_co_u32_e32 v1, vcc, v3, v1, vcc
	global_load_ushort v2, v[0:1], off
	v_lshlrev_b32_e32 v3, 16, v6
	s_mov_b32 s0, 0x7f800000
	s_waitcnt vmcnt(1)
	v_lshlrev_b32_e32 v4, 16, v4
	v_mul_f32_e32 v3, v3, v4
	v_and_b32_e32 v4, 0x7f800000, v3
	v_cmp_ne_u32_e32 vcc, s0, v4
                                        ; implicit-def: $vgpr4
	s_and_saveexec_b64 s[0:1], vcc
	s_xor_b64 s[0:1], exec, s[0:1]
; %bb.37:
	v_bfe_u32 v4, v3, 16, 1
	s_movk_i32 s2, 0x7fff
	v_add3_u32 v4, v3, v4, s2
                                        ; implicit-def: $vgpr3
; %bb.38:
	s_andn2_saveexec_b64 s[0:1], s[0:1]
; %bb.39:
	v_mov_b32_e32 v4, 0
	v_or_b32_e32 v5, 0x10000, v3
	v_cmp_eq_u32_sdwa vcc, v3, v4 src0_sel:WORD_0 src1_sel:DWORD
	v_cndmask_b32_e32 v4, v5, v3, vcc
; %bb.40:
	s_or_b64 exec, exec, s[0:1]
	v_and_b32_e32 v3, 0xffff0000, v4
	s_waitcnt vmcnt(0)
	v_lshlrev_b32_e32 v2, 16, v2
	v_add_f32_e32 v2, v2, v3
	s_mov_b32 s0, 0x7f800000
	v_and_b32_e32 v3, 0x7f800000, v2
	v_cmp_ne_u32_e32 vcc, s0, v3
                                        ; implicit-def: $vgpr3
	s_and_saveexec_b64 s[0:1], vcc
	s_xor_b64 s[0:1], exec, s[0:1]
; %bb.41:
	v_bfe_u32 v3, v2, 16, 1
	s_movk_i32 s2, 0x7fff
	v_add3_u32 v3, v2, v3, s2
                                        ; implicit-def: $vgpr2
; %bb.42:
	s_andn2_saveexec_b64 s[0:1], s[0:1]
; %bb.43:
	v_mov_b32_e32 v3, 0
	v_or_b32_e32 v4, 0x10000, v2
	v_cmp_eq_u32_sdwa vcc, v2, v3 src0_sel:WORD_0 src1_sel:DWORD
	v_cndmask_b32_e32 v3, v4, v2, vcc
; %bb.44:
	s_or_b64 exec, exec, s[0:1]
	global_store_short_d16_hi v[0:1], v3, off
.LBB98_45:
	s_endpgm
	.section	.rodata,"a",@progbits
	.p2align	6, 0x0
	.amdhsa_kernel _ZL27rocblas_axpy_kernel_batchedIiLi128ELi8EfPK16rocblas_bfloat16S2_PS0_EviT3_lT4_lT_lT5_lS6_li
		.amdhsa_group_segment_fixed_size 0
		.amdhsa_private_segment_fixed_size 0
		.amdhsa_kernarg_size 92
		.amdhsa_user_sgpr_count 6
		.amdhsa_user_sgpr_private_segment_buffer 1
		.amdhsa_user_sgpr_dispatch_ptr 0
		.amdhsa_user_sgpr_queue_ptr 0
		.amdhsa_user_sgpr_kernarg_segment_ptr 1
		.amdhsa_user_sgpr_dispatch_id 0
		.amdhsa_user_sgpr_flat_scratch_init 0
		.amdhsa_user_sgpr_private_segment_size 0
		.amdhsa_uses_dynamic_stack 0
		.amdhsa_system_sgpr_private_segment_wavefront_offset 0
		.amdhsa_system_sgpr_workgroup_id_x 1
		.amdhsa_system_sgpr_workgroup_id_y 0
		.amdhsa_system_sgpr_workgroup_id_z 1
		.amdhsa_system_sgpr_workgroup_info 0
		.amdhsa_system_vgpr_workitem_id 1
		.amdhsa_next_free_vgpr 15
		.amdhsa_next_free_sgpr 23
		.amdhsa_reserve_vcc 1
		.amdhsa_reserve_flat_scratch 0
		.amdhsa_float_round_mode_32 0
		.amdhsa_float_round_mode_16_64 0
		.amdhsa_float_denorm_mode_32 3
		.amdhsa_float_denorm_mode_16_64 3
		.amdhsa_dx10_clamp 1
		.amdhsa_ieee_mode 1
		.amdhsa_fp16_overflow 0
		.amdhsa_exception_fp_ieee_invalid_op 0
		.amdhsa_exception_fp_denorm_src 0
		.amdhsa_exception_fp_ieee_div_zero 0
		.amdhsa_exception_fp_ieee_overflow 0
		.amdhsa_exception_fp_ieee_underflow 0
		.amdhsa_exception_fp_ieee_inexact 0
		.amdhsa_exception_int_div_zero 0
	.end_amdhsa_kernel
	.section	.text._ZL27rocblas_axpy_kernel_batchedIiLi128ELi8EfPK16rocblas_bfloat16S2_PS0_EviT3_lT4_lT_lT5_lS6_li,"axG",@progbits,_ZL27rocblas_axpy_kernel_batchedIiLi128ELi8EfPK16rocblas_bfloat16S2_PS0_EviT3_lT4_lT_lT5_lS6_li,comdat
.Lfunc_end98:
	.size	_ZL27rocblas_axpy_kernel_batchedIiLi128ELi8EfPK16rocblas_bfloat16S2_PS0_EviT3_lT4_lT_lT5_lS6_li, .Lfunc_end98-_ZL27rocblas_axpy_kernel_batchedIiLi128ELi8EfPK16rocblas_bfloat16S2_PS0_EviT3_lT4_lT_lT5_lS6_li
                                        ; -- End function
	.set _ZL27rocblas_axpy_kernel_batchedIiLi128ELi8EfPK16rocblas_bfloat16S2_PS0_EviT3_lT4_lT_lT5_lS6_li.num_vgpr, 15
	.set _ZL27rocblas_axpy_kernel_batchedIiLi128ELi8EfPK16rocblas_bfloat16S2_PS0_EviT3_lT4_lT_lT5_lS6_li.num_agpr, 0
	.set _ZL27rocblas_axpy_kernel_batchedIiLi128ELi8EfPK16rocblas_bfloat16S2_PS0_EviT3_lT4_lT_lT5_lS6_li.numbered_sgpr, 23
	.set _ZL27rocblas_axpy_kernel_batchedIiLi128ELi8EfPK16rocblas_bfloat16S2_PS0_EviT3_lT4_lT_lT5_lS6_li.num_named_barrier, 0
	.set _ZL27rocblas_axpy_kernel_batchedIiLi128ELi8EfPK16rocblas_bfloat16S2_PS0_EviT3_lT4_lT_lT5_lS6_li.private_seg_size, 0
	.set _ZL27rocblas_axpy_kernel_batchedIiLi128ELi8EfPK16rocblas_bfloat16S2_PS0_EviT3_lT4_lT_lT5_lS6_li.uses_vcc, 1
	.set _ZL27rocblas_axpy_kernel_batchedIiLi128ELi8EfPK16rocblas_bfloat16S2_PS0_EviT3_lT4_lT_lT5_lS6_li.uses_flat_scratch, 0
	.set _ZL27rocblas_axpy_kernel_batchedIiLi128ELi8EfPK16rocblas_bfloat16S2_PS0_EviT3_lT4_lT_lT5_lS6_li.has_dyn_sized_stack, 0
	.set _ZL27rocblas_axpy_kernel_batchedIiLi128ELi8EfPK16rocblas_bfloat16S2_PS0_EviT3_lT4_lT_lT5_lS6_li.has_recursion, 0
	.set _ZL27rocblas_axpy_kernel_batchedIiLi128ELi8EfPK16rocblas_bfloat16S2_PS0_EviT3_lT4_lT_lT5_lS6_li.has_indirect_call, 0
	.section	.AMDGPU.csdata,"",@progbits
; Kernel info:
; codeLenInByte = 1784
; TotalNumSgprs: 27
; NumVgprs: 15
; ScratchSize: 0
; MemoryBound: 0
; FloatMode: 240
; IeeeMode: 1
; LDSByteSize: 0 bytes/workgroup (compile time only)
; SGPRBlocks: 3
; VGPRBlocks: 3
; NumSGPRsForWavesPerEU: 27
; NumVGPRsForWavesPerEU: 15
; Occupancy: 10
; WaveLimiterHint : 0
; COMPUTE_PGM_RSRC2:SCRATCH_EN: 0
; COMPUTE_PGM_RSRC2:USER_SGPR: 6
; COMPUTE_PGM_RSRC2:TRAP_HANDLER: 0
; COMPUTE_PGM_RSRC2:TGID_X_EN: 1
; COMPUTE_PGM_RSRC2:TGID_Y_EN: 0
; COMPUTE_PGM_RSRC2:TGID_Z_EN: 1
; COMPUTE_PGM_RSRC2:TIDIG_COMP_CNT: 1
	.section	.text._ZL27rocblas_axpy_kernel_batchedIiLi128ELi8Ef16rocblas_bfloat16PKS0_PS0_EviT3_lT4_lT_lT5_lS6_li,"axG",@progbits,_ZL27rocblas_axpy_kernel_batchedIiLi128ELi8Ef16rocblas_bfloat16PKS0_PS0_EviT3_lT4_lT_lT5_lS6_li,comdat
	.globl	_ZL27rocblas_axpy_kernel_batchedIiLi128ELi8Ef16rocblas_bfloat16PKS0_PS0_EviT3_lT4_lT_lT5_lS6_li ; -- Begin function _ZL27rocblas_axpy_kernel_batchedIiLi128ELi8Ef16rocblas_bfloat16PKS0_PS0_EviT3_lT4_lT_lT5_lS6_li
	.p2align	8
	.type	_ZL27rocblas_axpy_kernel_batchedIiLi128ELi8Ef16rocblas_bfloat16PKS0_PS0_EviT3_lT4_lT_lT5_lS6_li,@function
_ZL27rocblas_axpy_kernel_batchedIiLi128ELi8Ef16rocblas_bfloat16PKS0_PS0_EviT3_lT4_lT_lT5_lS6_li: ; @_ZL27rocblas_axpy_kernel_batchedIiLi128ELi8Ef16rocblas_bfloat16PKS0_PS0_EviT3_lT4_lT_lT5_lS6_li
; %bb.0:
	s_load_dwordx2 s[10:11], s[4:5], 0x0
	v_lshl_add_u32 v2, s6, 7, v0
	v_mov_b32_e32 v3, 0
	s_waitcnt lgkmcnt(0)
	s_ashr_i32 s1, s10, 31
	s_mov_b32 s0, s10
	v_cmp_gt_i64_e32 vcc, s[0:1], v[2:3]
	s_and_saveexec_b64 s[0:1], vcc
	s_cbranch_execz .LBB99_41
; %bb.1:
	s_load_dword s6, s[4:5], 0x20
	s_load_dwordx4 s[16:19], s[4:5], 0x10
	s_load_dwordx4 s[0:3], s[4:5], 0x28
	s_load_dwordx2 s[14:15], s[4:5], 0x38
	s_load_dword s13, s[4:5], 0x40
	s_load_dwordx2 s[8:9], s[4:5], 0x48
	s_load_dword s12, s[4:5], 0x50
	s_waitcnt lgkmcnt(0)
	v_mad_u64_u32 v[3:4], s[4:5], s6, v2, 0
	v_mad_u64_u32 v[7:8], s[4:5], s13, v2, 0
	s_ashr_i32 s10, s6, 31
	v_mov_b32_e32 v0, v4
	s_ashr_i32 s6, s13, 31
	v_mad_u64_u32 v[4:5], s[4:5], s10, v2, v[0:1]
	v_mov_b32_e32 v0, v8
	v_mad_u64_u32 v[5:6], s[4:5], s6, v2, v[0:1]
	s_and_b32 s4, s11, 0x7fff
	v_lshlrev_b32_e32 v0, 2, v1
	s_cmp_lg_u32 s4, 0
	v_lshl_add_u32 v6, s7, 5, v0
	s_cselect_b64 s[4:5], -1, 0
	s_lshl_b64 s[6:7], s[18:19], 1
	s_add_u32 s6, s16, s6
	v_lshlrev_b64 v[0:1], 1, v[3:4]
	s_addc_u32 s7, s17, s7
	v_mov_b32_e32 v8, v5
	v_mov_b32_e32 v2, s7
	v_add_co_u32_e32 v4, vcc, s6, v0
	s_lshl_b64 s[6:7], s[14:15], 1
	v_addc_co_u32_e32 v5, vcc, v2, v1, vcc
	s_add_u32 s2, s2, s6
	v_lshlrev_b64 v[0:1], 1, v[7:8]
	s_addc_u32 s3, s3, s7
	v_mov_b32_e32 v3, s3
	v_add_co_u32_e32 v2, vcc, s2, v0
	v_addc_co_u32_e32 v3, vcc, v3, v1, vcc
	v_cmp_gt_u32_e32 vcc, s12, v6
	s_lshl_b32 s10, s11, 16
	s_and_b64 s[6:7], vcc, s[4:5]
	s_and_saveexec_b64 s[2:3], s[6:7]
	s_cbranch_execz .LBB99_11
; %bb.2:
	v_mad_u64_u32 v[0:1], s[6:7], s0, v6, 0
	v_mad_u64_u32 v[7:8], s[6:7], s8, v6, 0
	;; [unrolled: 1-line block ×3, first 2 shown]
	v_mov_b32_e32 v1, v9
	v_lshlrev_b64 v[0:1], 1, v[0:1]
	v_mad_u64_u32 v[8:9], s[6:7], s9, v6, v[8:9]
	v_add_co_u32_e32 v0, vcc, v4, v0
	v_addc_co_u32_e32 v1, vcc, v5, v1, vcc
	v_lshlrev_b64 v[7:8], 1, v[7:8]
	global_load_ushort v9, v[0:1], off
	v_add_co_u32_e32 v0, vcc, v2, v7
	v_addc_co_u32_e32 v1, vcc, v3, v8, vcc
	global_load_ushort v7, v[0:1], off
	s_mov_b32 s6, 0x7f800000
	s_waitcnt vmcnt(1)
	v_lshlrev_b32_e32 v8, 16, v9
	v_mul_f32_e32 v8, s10, v8
	v_and_b32_e32 v9, 0x7f800000, v8
	v_cmp_ne_u32_e32 vcc, s6, v9
                                        ; implicit-def: $vgpr9
	s_and_saveexec_b64 s[6:7], vcc
	s_xor_b64 s[6:7], exec, s[6:7]
; %bb.3:
	v_bfe_u32 v9, v8, 16, 1
	s_movk_i32 s11, 0x7fff
	v_add3_u32 v9, v8, v9, s11
                                        ; implicit-def: $vgpr8
; %bb.4:
	s_andn2_saveexec_b64 s[6:7], s[6:7]
; %bb.5:
	v_mov_b32_e32 v9, 0
	v_or_b32_e32 v10, 0x10000, v8
	v_cmp_eq_u32_sdwa vcc, v8, v9 src0_sel:WORD_0 src1_sel:DWORD
	v_cndmask_b32_e32 v9, v10, v8, vcc
; %bb.6:
	s_or_b64 exec, exec, s[6:7]
	v_and_b32_e32 v8, 0xffff0000, v9
	s_waitcnt vmcnt(0)
	v_lshlrev_b32_e32 v7, 16, v7
	v_add_f32_e32 v7, v7, v8
	s_mov_b32 s6, 0x7f800000
	v_and_b32_e32 v8, 0x7f800000, v7
	v_cmp_ne_u32_e32 vcc, s6, v8
                                        ; implicit-def: $vgpr8
	s_and_saveexec_b64 s[6:7], vcc
	s_xor_b64 s[6:7], exec, s[6:7]
; %bb.7:
	v_bfe_u32 v8, v7, 16, 1
	s_movk_i32 s11, 0x7fff
	v_add3_u32 v8, v7, v8, s11
                                        ; implicit-def: $vgpr7
; %bb.8:
	s_andn2_saveexec_b64 s[6:7], s[6:7]
; %bb.9:
	v_mov_b32_e32 v8, 0
	v_or_b32_e32 v9, 0x10000, v7
	v_cmp_eq_u32_sdwa vcc, v7, v8 src0_sel:WORD_0 src1_sel:DWORD
	v_cndmask_b32_e32 v8, v9, v7, vcc
; %bb.10:
	s_or_b64 exec, exec, s[6:7]
	global_store_short_d16_hi v[0:1], v8, off
.LBB99_11:
	s_or_b64 exec, exec, s[2:3]
	v_or_b32_e32 v0, 1, v6
	v_cmp_gt_u32_e32 vcc, s12, v0
	s_and_b64 s[6:7], vcc, s[4:5]
	s_and_saveexec_b64 s[2:3], s[6:7]
	s_cbranch_execz .LBB99_21
; %bb.12:
	v_mad_u64_u32 v[7:8], s[6:7], s0, v0, 0
	v_mad_u64_u32 v[9:10], s[6:7], s8, v0, 0
	v_mov_b32_e32 v1, v8
	v_mad_u64_u32 v[11:12], s[6:7], s1, v0, v[1:2]
	v_mov_b32_e32 v1, v10
	;; [unrolled: 2-line block ×3, first 2 shown]
	v_lshlrev_b64 v[7:8], 1, v[7:8]
	v_mov_b32_e32 v10, v0
	v_add_co_u32_e32 v7, vcc, v4, v7
	v_addc_co_u32_e32 v8, vcc, v5, v8, vcc
	v_lshlrev_b64 v[0:1], 1, v[9:10]
	global_load_ushort v8, v[7:8], off
	v_add_co_u32_e32 v0, vcc, v2, v0
	v_addc_co_u32_e32 v1, vcc, v3, v1, vcc
	global_load_ushort v7, v[0:1], off
	s_mov_b32 s6, 0x7f800000
	s_waitcnt vmcnt(1)
	v_lshlrev_b32_e32 v8, 16, v8
	v_mul_f32_e32 v8, s10, v8
	v_and_b32_e32 v9, 0x7f800000, v8
	v_cmp_ne_u32_e32 vcc, s6, v9
                                        ; implicit-def: $vgpr9
	s_and_saveexec_b64 s[6:7], vcc
	s_xor_b64 s[6:7], exec, s[6:7]
; %bb.13:
	v_bfe_u32 v9, v8, 16, 1
	s_movk_i32 s11, 0x7fff
	v_add3_u32 v9, v8, v9, s11
                                        ; implicit-def: $vgpr8
; %bb.14:
	s_andn2_saveexec_b64 s[6:7], s[6:7]
; %bb.15:
	v_mov_b32_e32 v9, 0
	v_or_b32_e32 v10, 0x10000, v8
	v_cmp_eq_u32_sdwa vcc, v8, v9 src0_sel:WORD_0 src1_sel:DWORD
	v_cndmask_b32_e32 v9, v10, v8, vcc
; %bb.16:
	s_or_b64 exec, exec, s[6:7]
	v_and_b32_e32 v8, 0xffff0000, v9
	s_waitcnt vmcnt(0)
	v_lshlrev_b32_e32 v7, 16, v7
	v_add_f32_e32 v7, v7, v8
	s_mov_b32 s6, 0x7f800000
	v_and_b32_e32 v8, 0x7f800000, v7
	v_cmp_ne_u32_e32 vcc, s6, v8
                                        ; implicit-def: $vgpr8
	s_and_saveexec_b64 s[6:7], vcc
	s_xor_b64 s[6:7], exec, s[6:7]
; %bb.17:
	v_bfe_u32 v8, v7, 16, 1
	s_movk_i32 s11, 0x7fff
	v_add3_u32 v8, v7, v8, s11
                                        ; implicit-def: $vgpr7
; %bb.18:
	s_andn2_saveexec_b64 s[6:7], s[6:7]
; %bb.19:
	v_mov_b32_e32 v8, 0
	v_or_b32_e32 v9, 0x10000, v7
	v_cmp_eq_u32_sdwa vcc, v7, v8 src0_sel:WORD_0 src1_sel:DWORD
	v_cndmask_b32_e32 v8, v9, v7, vcc
; %bb.20:
	s_or_b64 exec, exec, s[6:7]
	global_store_short_d16_hi v[0:1], v8, off
.LBB99_21:
	s_or_b64 exec, exec, s[2:3]
	v_or_b32_e32 v0, 2, v6
	v_cmp_gt_u32_e32 vcc, s12, v0
	s_and_b64 s[6:7], vcc, s[4:5]
	s_and_saveexec_b64 s[2:3], s[6:7]
	s_cbranch_execz .LBB99_31
; %bb.22:
	v_mad_u64_u32 v[7:8], s[6:7], s0, v0, 0
	v_mad_u64_u32 v[9:10], s[6:7], s8, v0, 0
	v_mov_b32_e32 v1, v8
	v_mad_u64_u32 v[11:12], s[6:7], s1, v0, v[1:2]
	v_mov_b32_e32 v1, v10
	;; [unrolled: 2-line block ×3, first 2 shown]
	v_lshlrev_b64 v[7:8], 1, v[7:8]
	v_mov_b32_e32 v10, v0
	v_add_co_u32_e32 v7, vcc, v4, v7
	v_addc_co_u32_e32 v8, vcc, v5, v8, vcc
	v_lshlrev_b64 v[0:1], 1, v[9:10]
	global_load_ushort v8, v[7:8], off
	v_add_co_u32_e32 v0, vcc, v2, v0
	v_addc_co_u32_e32 v1, vcc, v3, v1, vcc
	global_load_ushort v7, v[0:1], off
	s_mov_b32 s6, 0x7f800000
	s_waitcnt vmcnt(1)
	v_lshlrev_b32_e32 v8, 16, v8
	v_mul_f32_e32 v8, s10, v8
	v_and_b32_e32 v9, 0x7f800000, v8
	v_cmp_ne_u32_e32 vcc, s6, v9
                                        ; implicit-def: $vgpr9
	s_and_saveexec_b64 s[6:7], vcc
	s_xor_b64 s[6:7], exec, s[6:7]
; %bb.23:
	v_bfe_u32 v9, v8, 16, 1
	s_movk_i32 s11, 0x7fff
	v_add3_u32 v9, v8, v9, s11
                                        ; implicit-def: $vgpr8
; %bb.24:
	s_andn2_saveexec_b64 s[6:7], s[6:7]
; %bb.25:
	v_mov_b32_e32 v9, 0
	v_or_b32_e32 v10, 0x10000, v8
	v_cmp_eq_u32_sdwa vcc, v8, v9 src0_sel:WORD_0 src1_sel:DWORD
	v_cndmask_b32_e32 v9, v10, v8, vcc
; %bb.26:
	s_or_b64 exec, exec, s[6:7]
	v_and_b32_e32 v8, 0xffff0000, v9
	s_waitcnt vmcnt(0)
	v_lshlrev_b32_e32 v7, 16, v7
	v_add_f32_e32 v7, v7, v8
	s_mov_b32 s6, 0x7f800000
	v_and_b32_e32 v8, 0x7f800000, v7
	v_cmp_ne_u32_e32 vcc, s6, v8
                                        ; implicit-def: $vgpr8
	s_and_saveexec_b64 s[6:7], vcc
	s_xor_b64 s[6:7], exec, s[6:7]
; %bb.27:
	v_bfe_u32 v8, v7, 16, 1
	s_movk_i32 s11, 0x7fff
	v_add3_u32 v8, v7, v8, s11
                                        ; implicit-def: $vgpr7
; %bb.28:
	s_andn2_saveexec_b64 s[6:7], s[6:7]
; %bb.29:
	v_mov_b32_e32 v8, 0
	v_or_b32_e32 v9, 0x10000, v7
	v_cmp_eq_u32_sdwa vcc, v7, v8 src0_sel:WORD_0 src1_sel:DWORD
	v_cndmask_b32_e32 v8, v9, v7, vcc
; %bb.30:
	s_or_b64 exec, exec, s[6:7]
	global_store_short_d16_hi v[0:1], v8, off
.LBB99_31:
	s_or_b64 exec, exec, s[2:3]
	v_or_b32_e32 v0, 3, v6
	v_cmp_gt_u32_e32 vcc, s12, v0
	s_and_b64 s[2:3], vcc, s[4:5]
	s_and_b64 exec, exec, s[2:3]
	s_cbranch_execz .LBB99_41
; %bb.32:
	v_mad_u64_u32 v[6:7], s[2:3], s0, v0, 0
	v_mad_u64_u32 v[8:9], s[2:3], s8, v0, 0
	v_mov_b32_e32 v1, v7
	v_mad_u64_u32 v[10:11], s[0:1], s1, v0, v[1:2]
	v_mov_b32_e32 v1, v9
	;; [unrolled: 2-line block ×3, first 2 shown]
	v_lshlrev_b64 v[6:7], 1, v[6:7]
	v_mov_b32_e32 v9, v0
	v_add_co_u32_e32 v4, vcc, v4, v6
	v_addc_co_u32_e32 v5, vcc, v5, v7, vcc
	v_lshlrev_b64 v[0:1], 1, v[8:9]
	global_load_ushort v4, v[4:5], off
	v_add_co_u32_e32 v0, vcc, v2, v0
	v_addc_co_u32_e32 v1, vcc, v3, v1, vcc
	global_load_ushort v2, v[0:1], off
	s_mov_b32 s0, 0x7f800000
	s_waitcnt vmcnt(1)
	v_lshlrev_b32_e32 v3, 16, v4
	v_mul_f32_e32 v3, s10, v3
	v_and_b32_e32 v4, 0x7f800000, v3
	v_cmp_ne_u32_e32 vcc, s0, v4
                                        ; implicit-def: $vgpr4
	s_and_saveexec_b64 s[0:1], vcc
	s_xor_b64 s[0:1], exec, s[0:1]
; %bb.33:
	v_bfe_u32 v4, v3, 16, 1
	s_movk_i32 s2, 0x7fff
	v_add3_u32 v4, v3, v4, s2
                                        ; implicit-def: $vgpr3
; %bb.34:
	s_andn2_saveexec_b64 s[0:1], s[0:1]
; %bb.35:
	v_mov_b32_e32 v4, 0
	v_or_b32_e32 v5, 0x10000, v3
	v_cmp_eq_u32_sdwa vcc, v3, v4 src0_sel:WORD_0 src1_sel:DWORD
	v_cndmask_b32_e32 v4, v5, v3, vcc
; %bb.36:
	s_or_b64 exec, exec, s[0:1]
	v_and_b32_e32 v3, 0xffff0000, v4
	s_waitcnt vmcnt(0)
	v_lshlrev_b32_e32 v2, 16, v2
	v_add_f32_e32 v2, v2, v3
	s_mov_b32 s0, 0x7f800000
	v_and_b32_e32 v3, 0x7f800000, v2
	v_cmp_ne_u32_e32 vcc, s0, v3
                                        ; implicit-def: $vgpr3
	s_and_saveexec_b64 s[0:1], vcc
	s_xor_b64 s[0:1], exec, s[0:1]
; %bb.37:
	v_bfe_u32 v3, v2, 16, 1
	s_movk_i32 s2, 0x7fff
	v_add3_u32 v3, v2, v3, s2
                                        ; implicit-def: $vgpr2
; %bb.38:
	s_andn2_saveexec_b64 s[0:1], s[0:1]
; %bb.39:
	v_mov_b32_e32 v3, 0
	v_or_b32_e32 v4, 0x10000, v2
	v_cmp_eq_u32_sdwa vcc, v2, v3 src0_sel:WORD_0 src1_sel:DWORD
	v_cndmask_b32_e32 v3, v4, v2, vcc
; %bb.40:
	s_or_b64 exec, exec, s[0:1]
	global_store_short_d16_hi v[0:1], v3, off
.LBB99_41:
	s_endpgm
	.section	.rodata,"a",@progbits
	.p2align	6, 0x0
	.amdhsa_kernel _ZL27rocblas_axpy_kernel_batchedIiLi128ELi8Ef16rocblas_bfloat16PKS0_PS0_EviT3_lT4_lT_lT5_lS6_li
		.amdhsa_group_segment_fixed_size 0
		.amdhsa_private_segment_fixed_size 0
		.amdhsa_kernarg_size 84
		.amdhsa_user_sgpr_count 6
		.amdhsa_user_sgpr_private_segment_buffer 1
		.amdhsa_user_sgpr_dispatch_ptr 0
		.amdhsa_user_sgpr_queue_ptr 0
		.amdhsa_user_sgpr_kernarg_segment_ptr 1
		.amdhsa_user_sgpr_dispatch_id 0
		.amdhsa_user_sgpr_flat_scratch_init 0
		.amdhsa_user_sgpr_private_segment_size 0
		.amdhsa_uses_dynamic_stack 0
		.amdhsa_system_sgpr_private_segment_wavefront_offset 0
		.amdhsa_system_sgpr_workgroup_id_x 1
		.amdhsa_system_sgpr_workgroup_id_y 0
		.amdhsa_system_sgpr_workgroup_id_z 1
		.amdhsa_system_sgpr_workgroup_info 0
		.amdhsa_system_vgpr_workitem_id 1
		.amdhsa_next_free_vgpr 13
		.amdhsa_next_free_sgpr 20
		.amdhsa_reserve_vcc 1
		.amdhsa_reserve_flat_scratch 0
		.amdhsa_float_round_mode_32 0
		.amdhsa_float_round_mode_16_64 0
		.amdhsa_float_denorm_mode_32 3
		.amdhsa_float_denorm_mode_16_64 3
		.amdhsa_dx10_clamp 1
		.amdhsa_ieee_mode 1
		.amdhsa_fp16_overflow 0
		.amdhsa_exception_fp_ieee_invalid_op 0
		.amdhsa_exception_fp_denorm_src 0
		.amdhsa_exception_fp_ieee_div_zero 0
		.amdhsa_exception_fp_ieee_overflow 0
		.amdhsa_exception_fp_ieee_underflow 0
		.amdhsa_exception_fp_ieee_inexact 0
		.amdhsa_exception_int_div_zero 0
	.end_amdhsa_kernel
	.section	.text._ZL27rocblas_axpy_kernel_batchedIiLi128ELi8Ef16rocblas_bfloat16PKS0_PS0_EviT3_lT4_lT_lT5_lS6_li,"axG",@progbits,_ZL27rocblas_axpy_kernel_batchedIiLi128ELi8Ef16rocblas_bfloat16PKS0_PS0_EviT3_lT4_lT_lT5_lS6_li,comdat
.Lfunc_end99:
	.size	_ZL27rocblas_axpy_kernel_batchedIiLi128ELi8Ef16rocblas_bfloat16PKS0_PS0_EviT3_lT4_lT_lT5_lS6_li, .Lfunc_end99-_ZL27rocblas_axpy_kernel_batchedIiLi128ELi8Ef16rocblas_bfloat16PKS0_PS0_EviT3_lT4_lT_lT5_lS6_li
                                        ; -- End function
	.set _ZL27rocblas_axpy_kernel_batchedIiLi128ELi8Ef16rocblas_bfloat16PKS0_PS0_EviT3_lT4_lT_lT5_lS6_li.num_vgpr, 13
	.set _ZL27rocblas_axpy_kernel_batchedIiLi128ELi8Ef16rocblas_bfloat16PKS0_PS0_EviT3_lT4_lT_lT5_lS6_li.num_agpr, 0
	.set _ZL27rocblas_axpy_kernel_batchedIiLi128ELi8Ef16rocblas_bfloat16PKS0_PS0_EviT3_lT4_lT_lT5_lS6_li.numbered_sgpr, 20
	.set _ZL27rocblas_axpy_kernel_batchedIiLi128ELi8Ef16rocblas_bfloat16PKS0_PS0_EviT3_lT4_lT_lT5_lS6_li.num_named_barrier, 0
	.set _ZL27rocblas_axpy_kernel_batchedIiLi128ELi8Ef16rocblas_bfloat16PKS0_PS0_EviT3_lT4_lT_lT5_lS6_li.private_seg_size, 0
	.set _ZL27rocblas_axpy_kernel_batchedIiLi128ELi8Ef16rocblas_bfloat16PKS0_PS0_EviT3_lT4_lT_lT5_lS6_li.uses_vcc, 1
	.set _ZL27rocblas_axpy_kernel_batchedIiLi128ELi8Ef16rocblas_bfloat16PKS0_PS0_EviT3_lT4_lT_lT5_lS6_li.uses_flat_scratch, 0
	.set _ZL27rocblas_axpy_kernel_batchedIiLi128ELi8Ef16rocblas_bfloat16PKS0_PS0_EviT3_lT4_lT_lT5_lS6_li.has_dyn_sized_stack, 0
	.set _ZL27rocblas_axpy_kernel_batchedIiLi128ELi8Ef16rocblas_bfloat16PKS0_PS0_EviT3_lT4_lT_lT5_lS6_li.has_recursion, 0
	.set _ZL27rocblas_axpy_kernel_batchedIiLi128ELi8Ef16rocblas_bfloat16PKS0_PS0_EviT3_lT4_lT_lT5_lS6_li.has_indirect_call, 0
	.section	.AMDGPU.csdata,"",@progbits
; Kernel info:
; codeLenInByte = 1516
; TotalNumSgprs: 24
; NumVgprs: 13
; ScratchSize: 0
; MemoryBound: 0
; FloatMode: 240
; IeeeMode: 1
; LDSByteSize: 0 bytes/workgroup (compile time only)
; SGPRBlocks: 2
; VGPRBlocks: 3
; NumSGPRsForWavesPerEU: 24
; NumVGPRsForWavesPerEU: 13
; Occupancy: 10
; WaveLimiterHint : 0
; COMPUTE_PGM_RSRC2:SCRATCH_EN: 0
; COMPUTE_PGM_RSRC2:USER_SGPR: 6
; COMPUTE_PGM_RSRC2:TRAP_HANDLER: 0
; COMPUTE_PGM_RSRC2:TGID_X_EN: 1
; COMPUTE_PGM_RSRC2:TGID_Y_EN: 0
; COMPUTE_PGM_RSRC2:TGID_Z_EN: 1
; COMPUTE_PGM_RSRC2:TIDIG_COMP_CNT: 1
	.section	.text._ZL19rocblas_axpy_kernelIiLi256EfPK16rocblas_bfloat16S2_PS0_EviT2_lT3_lT_lT4_lS6_li,"axG",@progbits,_ZL19rocblas_axpy_kernelIiLi256EfPK16rocblas_bfloat16S2_PS0_EviT2_lT3_lT_lT4_lS6_li,comdat
	.globl	_ZL19rocblas_axpy_kernelIiLi256EfPK16rocblas_bfloat16S2_PS0_EviT2_lT3_lT_lT4_lS6_li ; -- Begin function _ZL19rocblas_axpy_kernelIiLi256EfPK16rocblas_bfloat16S2_PS0_EviT2_lT3_lT_lT4_lS6_li
	.p2align	8
	.type	_ZL19rocblas_axpy_kernelIiLi256EfPK16rocblas_bfloat16S2_PS0_EviT2_lT3_lT_lT4_lS6_li,@function
_ZL19rocblas_axpy_kernelIiLi256EfPK16rocblas_bfloat16S2_PS0_EviT2_lT3_lT_lT4_lS6_li: ; @_ZL19rocblas_axpy_kernelIiLi256EfPK16rocblas_bfloat16S2_PS0_EviT2_lT3_lT_lT4_lS6_li
; %bb.0:
	s_load_dword s8, s[4:5], 0x0
	s_load_dwordx4 s[0:3], s[4:5], 0x8
	v_mov_b32_e32 v1, 0
	v_lshl_or_b32 v0, s6, 8, v0
	s_waitcnt lgkmcnt(0)
	s_ashr_i32 s9, s8, 31
	s_mul_i32 s3, s3, s7
	s_mul_hi_u32 s10, s2, s7
	s_add_i32 s3, s10, s3
	s_mul_i32 s2, s2, s7
	s_lshl_b64 s[2:3], s[2:3], 1
	s_add_u32 s0, s0, s2
	s_addc_u32 s1, s1, s3
	global_load_ushort v2, v1, s[0:1]
	v_cmp_gt_i64_e32 vcc, s[8:9], v[0:1]
	s_waitcnt vmcnt(0)
	v_readfirstlane_b32 s0, v2
	s_and_b32 s0, s0, 0x7fff
	s_cmp_lg_u32 s0, 0
	s_cselect_b64 s[0:1], -1, 0
	s_and_b64 s[0:1], vcc, s[0:1]
	s_and_saveexec_b64 s[2:3], s[0:1]
	s_cbranch_execz .LBB100_10
; %bb.1:
	s_load_dword s6, s[4:5], 0x28
	s_load_dwordx4 s[8:11], s[4:5], 0x18
	s_waitcnt lgkmcnt(0)
	v_mad_u64_u32 v[3:4], s[0:1], s6, v0, 0
	s_load_dwordx4 s[0:3], s[4:5], 0x30
	s_load_dwordx2 s[12:13], s[4:5], 0x40
	s_load_dword s16, s[4:5], 0x48
	s_ashr_i32 s6, s6, 31
	v_mov_b32_e32 v1, v4
	v_mad_u64_u32 v[4:5], s[14:15], s6, v0, v[1:2]
	s_waitcnt lgkmcnt(0)
	s_mul_i32 s1, s1, s7
	s_mul_hi_u32 s14, s0, s7
	s_add_i32 s1, s14, s1
	s_mul_i32 s0, s0, s7
	s_ashr_i32 s6, s16, 31
	s_lshl_b64 s[0:1], s[0:1], 1
	s_add_u32 s8, s8, s0
	s_addc_u32 s14, s9, s1
	s_lshl_b64 s[0:1], s[10:11], 1
	s_add_u32 s10, s8, s0
	v_mad_u64_u32 v[5:6], s[8:9], s16, v0, 0
	s_load_dwordx2 s[4:5], s[4:5], 0x50
	s_addc_u32 s0, s14, s1
	v_mov_b32_e32 v1, v6
	v_mov_b32_e32 v7, s0
	v_mad_u64_u32 v[0:1], s[0:1], s6, v0, v[1:2]
	s_waitcnt lgkmcnt(0)
	s_mul_i32 s0, s5, s7
	s_mul_hi_u32 s1, s4, s7
	v_lshlrev_b64 v[3:4], 1, v[3:4]
	s_add_i32 s1, s1, s0
	s_mul_i32 s0, s4, s7
	s_lshl_b64 s[0:1], s[0:1], 1
	v_add_co_u32_e32 v3, vcc, s10, v3
	s_add_u32 s2, s2, s0
	v_addc_co_u32_e32 v4, vcc, v7, v4, vcc
	v_mov_b32_e32 v6, v0
	s_addc_u32 s3, s3, s1
	s_lshl_b64 s[0:1], s[12:13], 1
	s_add_u32 s0, s2, s0
	v_lshlrev_b64 v[0:1], 1, v[5:6]
	global_load_ushort v4, v[3:4], off
	s_addc_u32 s1, s3, s1
	v_mov_b32_e32 v5, s1
	v_add_co_u32_e32 v0, vcc, s0, v0
	v_addc_co_u32_e32 v1, vcc, v5, v1, vcc
	global_load_ushort v3, v[0:1], off
	v_lshlrev_b32_e32 v2, 16, v2
	s_mov_b32 s0, 0x7f800000
	s_waitcnt vmcnt(1)
	v_lshlrev_b32_e32 v4, 16, v4
	v_mul_f32_e32 v2, v2, v4
	v_and_b32_e32 v4, 0x7f800000, v2
	v_cmp_ne_u32_e32 vcc, s0, v4
                                        ; implicit-def: $vgpr4
	s_and_saveexec_b64 s[0:1], vcc
	s_xor_b64 s[0:1], exec, s[0:1]
; %bb.2:
	v_bfe_u32 v4, v2, 16, 1
	s_movk_i32 s2, 0x7fff
	v_add3_u32 v4, v2, v4, s2
                                        ; implicit-def: $vgpr2
; %bb.3:
	s_andn2_saveexec_b64 s[0:1], s[0:1]
; %bb.4:
	v_mov_b32_e32 v4, 0
	v_or_b32_e32 v5, 0x10000, v2
	v_cmp_eq_u32_sdwa vcc, v2, v4 src0_sel:WORD_0 src1_sel:DWORD
	v_cndmask_b32_e32 v4, v5, v2, vcc
; %bb.5:
	s_or_b64 exec, exec, s[0:1]
	v_and_b32_e32 v2, 0xffff0000, v4
	s_waitcnt vmcnt(0)
	v_lshlrev_b32_e32 v3, 16, v3
	v_add_f32_e32 v2, v3, v2
	s_mov_b32 s0, 0x7f800000
	v_and_b32_e32 v3, 0x7f800000, v2
	v_cmp_ne_u32_e32 vcc, s0, v3
                                        ; implicit-def: $vgpr3
	s_and_saveexec_b64 s[0:1], vcc
	s_xor_b64 s[0:1], exec, s[0:1]
; %bb.6:
	v_bfe_u32 v3, v2, 16, 1
	s_movk_i32 s2, 0x7fff
	v_add3_u32 v3, v2, v3, s2
                                        ; implicit-def: $vgpr2
; %bb.7:
	s_andn2_saveexec_b64 s[0:1], s[0:1]
; %bb.8:
	v_mov_b32_e32 v3, 0
	v_or_b32_e32 v4, 0x10000, v2
	v_cmp_eq_u32_sdwa vcc, v2, v3 src0_sel:WORD_0 src1_sel:DWORD
	v_cndmask_b32_e32 v3, v4, v2, vcc
; %bb.9:
	s_or_b64 exec, exec, s[0:1]
	global_store_short_d16_hi v[0:1], v3, off
.LBB100_10:
	s_endpgm
	.section	.rodata,"a",@progbits
	.p2align	6, 0x0
	.amdhsa_kernel _ZL19rocblas_axpy_kernelIiLi256EfPK16rocblas_bfloat16S2_PS0_EviT2_lT3_lT_lT4_lS6_li
		.amdhsa_group_segment_fixed_size 0
		.amdhsa_private_segment_fixed_size 0
		.amdhsa_kernarg_size 92
		.amdhsa_user_sgpr_count 6
		.amdhsa_user_sgpr_private_segment_buffer 1
		.amdhsa_user_sgpr_dispatch_ptr 0
		.amdhsa_user_sgpr_queue_ptr 0
		.amdhsa_user_sgpr_kernarg_segment_ptr 1
		.amdhsa_user_sgpr_dispatch_id 0
		.amdhsa_user_sgpr_flat_scratch_init 0
		.amdhsa_user_sgpr_private_segment_size 0
		.amdhsa_uses_dynamic_stack 0
		.amdhsa_system_sgpr_private_segment_wavefront_offset 0
		.amdhsa_system_sgpr_workgroup_id_x 1
		.amdhsa_system_sgpr_workgroup_id_y 0
		.amdhsa_system_sgpr_workgroup_id_z 1
		.amdhsa_system_sgpr_workgroup_info 0
		.amdhsa_system_vgpr_workitem_id 0
		.amdhsa_next_free_vgpr 8
		.amdhsa_next_free_sgpr 17
		.amdhsa_reserve_vcc 1
		.amdhsa_reserve_flat_scratch 0
		.amdhsa_float_round_mode_32 0
		.amdhsa_float_round_mode_16_64 0
		.amdhsa_float_denorm_mode_32 3
		.amdhsa_float_denorm_mode_16_64 3
		.amdhsa_dx10_clamp 1
		.amdhsa_ieee_mode 1
		.amdhsa_fp16_overflow 0
		.amdhsa_exception_fp_ieee_invalid_op 0
		.amdhsa_exception_fp_denorm_src 0
		.amdhsa_exception_fp_ieee_div_zero 0
		.amdhsa_exception_fp_ieee_overflow 0
		.amdhsa_exception_fp_ieee_underflow 0
		.amdhsa_exception_fp_ieee_inexact 0
		.amdhsa_exception_int_div_zero 0
	.end_amdhsa_kernel
	.section	.text._ZL19rocblas_axpy_kernelIiLi256EfPK16rocblas_bfloat16S2_PS0_EviT2_lT3_lT_lT4_lS6_li,"axG",@progbits,_ZL19rocblas_axpy_kernelIiLi256EfPK16rocblas_bfloat16S2_PS0_EviT2_lT3_lT_lT4_lS6_li,comdat
.Lfunc_end100:
	.size	_ZL19rocblas_axpy_kernelIiLi256EfPK16rocblas_bfloat16S2_PS0_EviT2_lT3_lT_lT4_lS6_li, .Lfunc_end100-_ZL19rocblas_axpy_kernelIiLi256EfPK16rocblas_bfloat16S2_PS0_EviT2_lT3_lT_lT4_lS6_li
                                        ; -- End function
	.set _ZL19rocblas_axpy_kernelIiLi256EfPK16rocblas_bfloat16S2_PS0_EviT2_lT3_lT_lT4_lS6_li.num_vgpr, 8
	.set _ZL19rocblas_axpy_kernelIiLi256EfPK16rocblas_bfloat16S2_PS0_EviT2_lT3_lT_lT4_lS6_li.num_agpr, 0
	.set _ZL19rocblas_axpy_kernelIiLi256EfPK16rocblas_bfloat16S2_PS0_EviT2_lT3_lT_lT4_lS6_li.numbered_sgpr, 17
	.set _ZL19rocblas_axpy_kernelIiLi256EfPK16rocblas_bfloat16S2_PS0_EviT2_lT3_lT_lT4_lS6_li.num_named_barrier, 0
	.set _ZL19rocblas_axpy_kernelIiLi256EfPK16rocblas_bfloat16S2_PS0_EviT2_lT3_lT_lT4_lS6_li.private_seg_size, 0
	.set _ZL19rocblas_axpy_kernelIiLi256EfPK16rocblas_bfloat16S2_PS0_EviT2_lT3_lT_lT4_lS6_li.uses_vcc, 1
	.set _ZL19rocblas_axpy_kernelIiLi256EfPK16rocblas_bfloat16S2_PS0_EviT2_lT3_lT_lT4_lS6_li.uses_flat_scratch, 0
	.set _ZL19rocblas_axpy_kernelIiLi256EfPK16rocblas_bfloat16S2_PS0_EviT2_lT3_lT_lT4_lS6_li.has_dyn_sized_stack, 0
	.set _ZL19rocblas_axpy_kernelIiLi256EfPK16rocblas_bfloat16S2_PS0_EviT2_lT3_lT_lT4_lS6_li.has_recursion, 0
	.set _ZL19rocblas_axpy_kernelIiLi256EfPK16rocblas_bfloat16S2_PS0_EviT2_lT3_lT_lT4_lS6_li.has_indirect_call, 0
	.section	.AMDGPU.csdata,"",@progbits
; Kernel info:
; codeLenInByte = 568
; TotalNumSgprs: 21
; NumVgprs: 8
; ScratchSize: 0
; MemoryBound: 0
; FloatMode: 240
; IeeeMode: 1
; LDSByteSize: 0 bytes/workgroup (compile time only)
; SGPRBlocks: 2
; VGPRBlocks: 1
; NumSGPRsForWavesPerEU: 21
; NumVGPRsForWavesPerEU: 8
; Occupancy: 10
; WaveLimiterHint : 0
; COMPUTE_PGM_RSRC2:SCRATCH_EN: 0
; COMPUTE_PGM_RSRC2:USER_SGPR: 6
; COMPUTE_PGM_RSRC2:TRAP_HANDLER: 0
; COMPUTE_PGM_RSRC2:TGID_X_EN: 1
; COMPUTE_PGM_RSRC2:TGID_Y_EN: 0
; COMPUTE_PGM_RSRC2:TGID_Z_EN: 1
; COMPUTE_PGM_RSRC2:TIDIG_COMP_CNT: 0
	.section	.text._ZL19rocblas_axpy_kernelIiLi256Ef16rocblas_bfloat16PKS0_PS0_EviT2_lT3_lT_lT4_lS6_li,"axG",@progbits,_ZL19rocblas_axpy_kernelIiLi256Ef16rocblas_bfloat16PKS0_PS0_EviT2_lT3_lT_lT4_lS6_li,comdat
	.globl	_ZL19rocblas_axpy_kernelIiLi256Ef16rocblas_bfloat16PKS0_PS0_EviT2_lT3_lT_lT4_lS6_li ; -- Begin function _ZL19rocblas_axpy_kernelIiLi256Ef16rocblas_bfloat16PKS0_PS0_EviT2_lT3_lT_lT4_lS6_li
	.p2align	8
	.type	_ZL19rocblas_axpy_kernelIiLi256Ef16rocblas_bfloat16PKS0_PS0_EviT2_lT3_lT_lT4_lS6_li,@function
_ZL19rocblas_axpy_kernelIiLi256Ef16rocblas_bfloat16PKS0_PS0_EviT2_lT3_lT_lT4_lS6_li: ; @_ZL19rocblas_axpy_kernelIiLi256Ef16rocblas_bfloat16PKS0_PS0_EviT2_lT3_lT_lT4_lS6_li
; %bb.0:
	s_load_dwordx2 s[8:9], s[4:5], 0x0
	v_lshl_or_b32 v0, s6, 8, v0
	v_mov_b32_e32 v1, 0
	s_waitcnt lgkmcnt(0)
	s_and_b32 s0, s9, 0x7fff
	s_cmp_lg_u32 s0, 0
	s_cselect_b64 s[0:1], -1, 0
	s_ashr_i32 s3, s8, 31
	s_mov_b32 s2, s8
	v_cmp_gt_i64_e32 vcc, s[2:3], v[0:1]
	s_and_b64 s[0:1], vcc, s[0:1]
	s_and_saveexec_b64 s[2:3], s[0:1]
	s_cbranch_execz .LBB101_10
; %bb.1:
	s_load_dword s6, s[4:5], 0x20
	s_load_dwordx4 s[12:15], s[4:5], 0x10
	s_waitcnt lgkmcnt(0)
	v_mad_u64_u32 v[1:2], s[0:1], s6, v0, 0
	s_load_dwordx4 s[0:3], s[4:5], 0x28
	s_load_dwordx2 s[10:11], s[4:5], 0x38
	s_load_dword s8, s[4:5], 0x40
	s_ashr_i32 s6, s6, 31
	v_mad_u64_u32 v[2:3], s[16:17], s6, v0, v[2:3]
	s_waitcnt lgkmcnt(0)
	s_mul_i32 s1, s1, s7
	s_mul_hi_u32 s16, s0, s7
	s_add_i32 s1, s16, s1
	s_mul_i32 s0, s0, s7
	s_ashr_i32 s6, s8, 31
	s_lshl_b64 s[0:1], s[0:1], 1
	s_add_u32 s12, s12, s0
	s_addc_u32 s16, s13, s1
	s_lshl_b64 s[0:1], s[14:15], 1
	s_load_dwordx2 s[4:5], s[4:5], 0x48
	s_add_u32 s14, s12, s0
	v_mad_u64_u32 v[3:4], s[12:13], s8, v0, 0
	s_addc_u32 s0, s16, s1
	v_mov_b32_e32 v6, s0
	v_mad_u64_u32 v[4:5], s[0:1], s6, v0, v[4:5]
	s_waitcnt lgkmcnt(0)
	s_mul_i32 s0, s5, s7
	s_mul_hi_u32 s1, s4, s7
	v_lshlrev_b64 v[1:2], 1, v[1:2]
	s_add_i32 s1, s1, s0
	s_mul_i32 s0, s4, s7
	s_lshl_b64 s[0:1], s[0:1], 1
	v_add_co_u32_e32 v0, vcc, s14, v1
	s_add_u32 s2, s2, s0
	v_addc_co_u32_e32 v1, vcc, v6, v2, vcc
	s_addc_u32 s3, s3, s1
	s_lshl_b64 s[0:1], s[10:11], 1
	s_add_u32 s0, s2, s0
	v_lshlrev_b64 v[2:3], 1, v[3:4]
	global_load_ushort v5, v[0:1], off
	s_addc_u32 s1, s3, s1
	v_mov_b32_e32 v4, s1
	v_add_co_u32_e32 v0, vcc, s0, v2
	v_addc_co_u32_e32 v1, vcc, v4, v3, vcc
	global_load_ushort v2, v[0:1], off
	s_lshl_b32 s0, s9, 16
	s_waitcnt vmcnt(1)
	v_lshlrev_b32_e32 v3, 16, v5
	v_mul_f32_e32 v3, s0, v3
	s_mov_b32 s0, 0x7f800000
	v_and_b32_e32 v4, 0x7f800000, v3
	v_cmp_ne_u32_e32 vcc, s0, v4
                                        ; implicit-def: $vgpr4
	s_and_saveexec_b64 s[0:1], vcc
	s_xor_b64 s[0:1], exec, s[0:1]
; %bb.2:
	v_bfe_u32 v4, v3, 16, 1
	s_movk_i32 s2, 0x7fff
	v_add3_u32 v4, v3, v4, s2
                                        ; implicit-def: $vgpr3
; %bb.3:
	s_andn2_saveexec_b64 s[0:1], s[0:1]
; %bb.4:
	v_mov_b32_e32 v4, 0
	v_or_b32_e32 v5, 0x10000, v3
	v_cmp_eq_u32_sdwa vcc, v3, v4 src0_sel:WORD_0 src1_sel:DWORD
	v_cndmask_b32_e32 v4, v5, v3, vcc
; %bb.5:
	s_or_b64 exec, exec, s[0:1]
	v_and_b32_e32 v3, 0xffff0000, v4
	s_waitcnt vmcnt(0)
	v_lshlrev_b32_e32 v2, 16, v2
	v_add_f32_e32 v2, v2, v3
	s_mov_b32 s0, 0x7f800000
	v_and_b32_e32 v3, 0x7f800000, v2
	v_cmp_ne_u32_e32 vcc, s0, v3
                                        ; implicit-def: $vgpr3
	s_and_saveexec_b64 s[0:1], vcc
	s_xor_b64 s[0:1], exec, s[0:1]
; %bb.6:
	v_bfe_u32 v3, v2, 16, 1
	s_movk_i32 s2, 0x7fff
	v_add3_u32 v3, v2, v3, s2
                                        ; implicit-def: $vgpr2
; %bb.7:
	s_andn2_saveexec_b64 s[0:1], s[0:1]
; %bb.8:
	v_mov_b32_e32 v3, 0
	v_or_b32_e32 v4, 0x10000, v2
	v_cmp_eq_u32_sdwa vcc, v2, v3 src0_sel:WORD_0 src1_sel:DWORD
	v_cndmask_b32_e32 v3, v4, v2, vcc
; %bb.9:
	s_or_b64 exec, exec, s[0:1]
	global_store_short_d16_hi v[0:1], v3, off
.LBB101_10:
	s_endpgm
	.section	.rodata,"a",@progbits
	.p2align	6, 0x0
	.amdhsa_kernel _ZL19rocblas_axpy_kernelIiLi256Ef16rocblas_bfloat16PKS0_PS0_EviT2_lT3_lT_lT4_lS6_li
		.amdhsa_group_segment_fixed_size 0
		.amdhsa_private_segment_fixed_size 0
		.amdhsa_kernarg_size 84
		.amdhsa_user_sgpr_count 6
		.amdhsa_user_sgpr_private_segment_buffer 1
		.amdhsa_user_sgpr_dispatch_ptr 0
		.amdhsa_user_sgpr_queue_ptr 0
		.amdhsa_user_sgpr_kernarg_segment_ptr 1
		.amdhsa_user_sgpr_dispatch_id 0
		.amdhsa_user_sgpr_flat_scratch_init 0
		.amdhsa_user_sgpr_private_segment_size 0
		.amdhsa_uses_dynamic_stack 0
		.amdhsa_system_sgpr_private_segment_wavefront_offset 0
		.amdhsa_system_sgpr_workgroup_id_x 1
		.amdhsa_system_sgpr_workgroup_id_y 0
		.amdhsa_system_sgpr_workgroup_id_z 1
		.amdhsa_system_sgpr_workgroup_info 0
		.amdhsa_system_vgpr_workitem_id 0
		.amdhsa_next_free_vgpr 7
		.amdhsa_next_free_sgpr 18
		.amdhsa_reserve_vcc 1
		.amdhsa_reserve_flat_scratch 0
		.amdhsa_float_round_mode_32 0
		.amdhsa_float_round_mode_16_64 0
		.amdhsa_float_denorm_mode_32 3
		.amdhsa_float_denorm_mode_16_64 3
		.amdhsa_dx10_clamp 1
		.amdhsa_ieee_mode 1
		.amdhsa_fp16_overflow 0
		.amdhsa_exception_fp_ieee_invalid_op 0
		.amdhsa_exception_fp_denorm_src 0
		.amdhsa_exception_fp_ieee_div_zero 0
		.amdhsa_exception_fp_ieee_overflow 0
		.amdhsa_exception_fp_ieee_underflow 0
		.amdhsa_exception_fp_ieee_inexact 0
		.amdhsa_exception_int_div_zero 0
	.end_amdhsa_kernel
	.section	.text._ZL19rocblas_axpy_kernelIiLi256Ef16rocblas_bfloat16PKS0_PS0_EviT2_lT3_lT_lT4_lS6_li,"axG",@progbits,_ZL19rocblas_axpy_kernelIiLi256Ef16rocblas_bfloat16PKS0_PS0_EviT2_lT3_lT_lT4_lS6_li,comdat
.Lfunc_end101:
	.size	_ZL19rocblas_axpy_kernelIiLi256Ef16rocblas_bfloat16PKS0_PS0_EviT2_lT3_lT_lT4_lS6_li, .Lfunc_end101-_ZL19rocblas_axpy_kernelIiLi256Ef16rocblas_bfloat16PKS0_PS0_EviT2_lT3_lT_lT4_lS6_li
                                        ; -- End function
	.set _ZL19rocblas_axpy_kernelIiLi256Ef16rocblas_bfloat16PKS0_PS0_EviT2_lT3_lT_lT4_lS6_li.num_vgpr, 7
	.set _ZL19rocblas_axpy_kernelIiLi256Ef16rocblas_bfloat16PKS0_PS0_EviT2_lT3_lT_lT4_lS6_li.num_agpr, 0
	.set _ZL19rocblas_axpy_kernelIiLi256Ef16rocblas_bfloat16PKS0_PS0_EviT2_lT3_lT_lT4_lS6_li.numbered_sgpr, 18
	.set _ZL19rocblas_axpy_kernelIiLi256Ef16rocblas_bfloat16PKS0_PS0_EviT2_lT3_lT_lT4_lS6_li.num_named_barrier, 0
	.set _ZL19rocblas_axpy_kernelIiLi256Ef16rocblas_bfloat16PKS0_PS0_EviT2_lT3_lT_lT4_lS6_li.private_seg_size, 0
	.set _ZL19rocblas_axpy_kernelIiLi256Ef16rocblas_bfloat16PKS0_PS0_EviT2_lT3_lT_lT4_lS6_li.uses_vcc, 1
	.set _ZL19rocblas_axpy_kernelIiLi256Ef16rocblas_bfloat16PKS0_PS0_EviT2_lT3_lT_lT4_lS6_li.uses_flat_scratch, 0
	.set _ZL19rocblas_axpy_kernelIiLi256Ef16rocblas_bfloat16PKS0_PS0_EviT2_lT3_lT_lT4_lS6_li.has_dyn_sized_stack, 0
	.set _ZL19rocblas_axpy_kernelIiLi256Ef16rocblas_bfloat16PKS0_PS0_EviT2_lT3_lT_lT4_lS6_li.has_recursion, 0
	.set _ZL19rocblas_axpy_kernelIiLi256Ef16rocblas_bfloat16PKS0_PS0_EviT2_lT3_lT_lT4_lS6_li.has_indirect_call, 0
	.section	.AMDGPU.csdata,"",@progbits
; Kernel info:
; codeLenInByte = 508
; TotalNumSgprs: 22
; NumVgprs: 7
; ScratchSize: 0
; MemoryBound: 0
; FloatMode: 240
; IeeeMode: 1
; LDSByteSize: 0 bytes/workgroup (compile time only)
; SGPRBlocks: 2
; VGPRBlocks: 1
; NumSGPRsForWavesPerEU: 22
; NumVGPRsForWavesPerEU: 7
; Occupancy: 10
; WaveLimiterHint : 0
; COMPUTE_PGM_RSRC2:SCRATCH_EN: 0
; COMPUTE_PGM_RSRC2:USER_SGPR: 6
; COMPUTE_PGM_RSRC2:TRAP_HANDLER: 0
; COMPUTE_PGM_RSRC2:TGID_X_EN: 1
; COMPUTE_PGM_RSRC2:TGID_Y_EN: 0
; COMPUTE_PGM_RSRC2:TGID_Z_EN: 1
; COMPUTE_PGM_RSRC2:TIDIG_COMP_CNT: 0
	.section	.text._ZL26rocblas_haxpy_mod_8_kernelILi256EPKfPK16rocblas_bfloat16PS2_EviT0_lT1_llT2_lli,"axG",@progbits,_ZL26rocblas_haxpy_mod_8_kernelILi256EPKfPK16rocblas_bfloat16PS2_EviT0_lT1_llT2_lli,comdat
	.globl	_ZL26rocblas_haxpy_mod_8_kernelILi256EPKfPK16rocblas_bfloat16PS2_EviT0_lT1_llT2_lli ; -- Begin function _ZL26rocblas_haxpy_mod_8_kernelILi256EPKfPK16rocblas_bfloat16PS2_EviT0_lT1_llT2_lli
	.p2align	8
	.type	_ZL26rocblas_haxpy_mod_8_kernelILi256EPKfPK16rocblas_bfloat16PS2_EviT0_lT1_llT2_lli,@function
_ZL26rocblas_haxpy_mod_8_kernelILi256EPKfPK16rocblas_bfloat16PS2_EviT0_lT1_llT2_lli: ; @_ZL26rocblas_haxpy_mod_8_kernelILi256EPKfPK16rocblas_bfloat16PS2_EviT0_lT1_llT2_lli
; %bb.0:
	s_load_dword s2, s[4:5], 0x0
	s_load_dwordx16 s[8:23], s[4:5], 0x8
	v_lshl_or_b32 v0, s6, 8, v0
	v_mov_b32_e32 v1, 0
	s_waitcnt lgkmcnt(0)
	s_ashr_i32 s3, s2, 31
	s_mul_i32 s0, s11, s7
	s_mul_hi_u32 s1, s10, s7
	s_add_i32 s1, s1, s0
	s_mul_i32 s0, s10, s7
	s_lshl_b64 s[0:1], s[0:1], 2
	s_add_u32 s0, s8, s0
	s_addc_u32 s1, s9, s1
	s_load_dword s0, s[0:1], 0x0
	v_cmp_gt_i64_e32 vcc, s[2:3], v[0:1]
	s_waitcnt lgkmcnt(0)
	v_cmp_neq_f32_e64 s[2:3], s0, 0
	s_and_b64 s[2:3], vcc, s[2:3]
	s_and_saveexec_b64 s[4:5], s[2:3]
	s_cbranch_execz .LBB102_10
; %bb.1:
	s_mul_i32 s1, s17, s7
	s_mul_hi_u32 s2, s16, s7
	s_add_i32 s3, s2, s1
	s_mul_i32 s2, s16, s7
	s_lshl_b64 s[2:3], s[2:3], 1
	s_add_u32 s1, s12, s2
	s_addc_u32 s4, s13, s3
	s_lshl_b64 s[2:3], s[14:15], 1
	s_add_u32 s1, s1, s2
	v_lshlrev_b64 v[0:1], 1, v[0:1]
	s_addc_u32 s2, s4, s3
	v_mov_b32_e32 v3, s2
	v_add_co_u32_e32 v2, vcc, s1, v0
	v_addc_co_u32_e32 v3, vcc, v3, v1, vcc
	global_load_ushort v2, v[2:3], off
	s_waitcnt vmcnt(0)
	v_lshlrev_b32_e32 v2, 16, v2
	v_mul_f32_e32 v3, s0, v2
	s_mov_b32 s0, 0x7f800000
	v_and_b32_e32 v2, 0x7f800000, v3
	v_cmp_ne_u32_e32 vcc, s0, v2
                                        ; implicit-def: $vgpr2
	s_and_saveexec_b64 s[0:1], vcc
	s_xor_b64 s[0:1], exec, s[0:1]
; %bb.2:
	v_bfe_u32 v2, v3, 16, 1
	s_movk_i32 s2, 0x7fff
	v_add3_u32 v2, v3, v2, s2
                                        ; implicit-def: $vgpr3
; %bb.3:
	s_andn2_saveexec_b64 s[0:1], s[0:1]
; %bb.4:
	v_mov_b32_e32 v2, 0
	v_or_b32_e32 v4, 0x10000, v3
	v_cmp_eq_u32_sdwa vcc, v3, v2 src0_sel:WORD_0 src1_sel:DWORD
	v_cndmask_b32_e32 v2, v4, v3, vcc
; %bb.5:
	s_or_b64 exec, exec, s[0:1]
	s_mul_i32 s0, s23, s7
	s_mul_hi_u32 s1, s22, s7
	s_add_i32 s1, s1, s0
	s_mul_i32 s0, s22, s7
	s_lshl_b64 s[0:1], s[0:1], 1
	s_add_u32 s2, s18, s0
	s_addc_u32 s3, s19, s1
	s_lshl_b64 s[0:1], s[20:21], 1
	s_add_u32 s0, s2, s0
	s_addc_u32 s1, s3, s1
	v_mov_b32_e32 v3, s1
	v_add_co_u32_e32 v0, vcc, s0, v0
	v_addc_co_u32_e32 v1, vcc, v3, v1, vcc
	global_load_ushort v3, v[0:1], off
	v_and_b32_e32 v2, 0xffff0000, v2
	s_mov_b32 s0, 0x7f800000
	s_waitcnt vmcnt(0)
	v_lshlrev_b32_e32 v3, 16, v3
	v_add_f32_e32 v2, v2, v3
	v_and_b32_e32 v3, 0x7f800000, v2
	v_cmp_ne_u32_e32 vcc, s0, v3
                                        ; implicit-def: $vgpr3
	s_and_saveexec_b64 s[0:1], vcc
	s_xor_b64 s[0:1], exec, s[0:1]
; %bb.6:
	v_bfe_u32 v3, v2, 16, 1
	s_movk_i32 s2, 0x7fff
	v_add3_u32 v3, v2, v3, s2
                                        ; implicit-def: $vgpr2
; %bb.7:
	s_andn2_saveexec_b64 s[0:1], s[0:1]
; %bb.8:
	v_mov_b32_e32 v3, 0
	v_or_b32_e32 v4, 0x10000, v2
	v_cmp_eq_u32_sdwa vcc, v2, v3 src0_sel:WORD_0 src1_sel:DWORD
	v_cndmask_b32_e32 v3, v4, v2, vcc
; %bb.9:
	s_or_b64 exec, exec, s[0:1]
	global_store_short_d16_hi v[0:1], v3, off
.LBB102_10:
	s_endpgm
	.section	.rodata,"a",@progbits
	.p2align	6, 0x0
	.amdhsa_kernel _ZL26rocblas_haxpy_mod_8_kernelILi256EPKfPK16rocblas_bfloat16PS2_EviT0_lT1_llT2_lli
		.amdhsa_group_segment_fixed_size 0
		.amdhsa_private_segment_fixed_size 0
		.amdhsa_kernarg_size 76
		.amdhsa_user_sgpr_count 6
		.amdhsa_user_sgpr_private_segment_buffer 1
		.amdhsa_user_sgpr_dispatch_ptr 0
		.amdhsa_user_sgpr_queue_ptr 0
		.amdhsa_user_sgpr_kernarg_segment_ptr 1
		.amdhsa_user_sgpr_dispatch_id 0
		.amdhsa_user_sgpr_flat_scratch_init 0
		.amdhsa_user_sgpr_private_segment_size 0
		.amdhsa_uses_dynamic_stack 0
		.amdhsa_system_sgpr_private_segment_wavefront_offset 0
		.amdhsa_system_sgpr_workgroup_id_x 1
		.amdhsa_system_sgpr_workgroup_id_y 0
		.amdhsa_system_sgpr_workgroup_id_z 1
		.amdhsa_system_sgpr_workgroup_info 0
		.amdhsa_system_vgpr_workitem_id 0
		.amdhsa_next_free_vgpr 5
		.amdhsa_next_free_sgpr 24
		.amdhsa_reserve_vcc 1
		.amdhsa_reserve_flat_scratch 0
		.amdhsa_float_round_mode_32 0
		.amdhsa_float_round_mode_16_64 0
		.amdhsa_float_denorm_mode_32 3
		.amdhsa_float_denorm_mode_16_64 3
		.amdhsa_dx10_clamp 1
		.amdhsa_ieee_mode 1
		.amdhsa_fp16_overflow 0
		.amdhsa_exception_fp_ieee_invalid_op 0
		.amdhsa_exception_fp_denorm_src 0
		.amdhsa_exception_fp_ieee_div_zero 0
		.amdhsa_exception_fp_ieee_overflow 0
		.amdhsa_exception_fp_ieee_underflow 0
		.amdhsa_exception_fp_ieee_inexact 0
		.amdhsa_exception_int_div_zero 0
	.end_amdhsa_kernel
	.section	.text._ZL26rocblas_haxpy_mod_8_kernelILi256EPKfPK16rocblas_bfloat16PS2_EviT0_lT1_llT2_lli,"axG",@progbits,_ZL26rocblas_haxpy_mod_8_kernelILi256EPKfPK16rocblas_bfloat16PS2_EviT0_lT1_llT2_lli,comdat
.Lfunc_end102:
	.size	_ZL26rocblas_haxpy_mod_8_kernelILi256EPKfPK16rocblas_bfloat16PS2_EviT0_lT1_llT2_lli, .Lfunc_end102-_ZL26rocblas_haxpy_mod_8_kernelILi256EPKfPK16rocblas_bfloat16PS2_EviT0_lT1_llT2_lli
                                        ; -- End function
	.set _ZL26rocblas_haxpy_mod_8_kernelILi256EPKfPK16rocblas_bfloat16PS2_EviT0_lT1_llT2_lli.num_vgpr, 5
	.set _ZL26rocblas_haxpy_mod_8_kernelILi256EPKfPK16rocblas_bfloat16PS2_EviT0_lT1_llT2_lli.num_agpr, 0
	.set _ZL26rocblas_haxpy_mod_8_kernelILi256EPKfPK16rocblas_bfloat16PS2_EviT0_lT1_llT2_lli.numbered_sgpr, 24
	.set _ZL26rocblas_haxpy_mod_8_kernelILi256EPKfPK16rocblas_bfloat16PS2_EviT0_lT1_llT2_lli.num_named_barrier, 0
	.set _ZL26rocblas_haxpy_mod_8_kernelILi256EPKfPK16rocblas_bfloat16PS2_EviT0_lT1_llT2_lli.private_seg_size, 0
	.set _ZL26rocblas_haxpy_mod_8_kernelILi256EPKfPK16rocblas_bfloat16PS2_EviT0_lT1_llT2_lli.uses_vcc, 1
	.set _ZL26rocblas_haxpy_mod_8_kernelILi256EPKfPK16rocblas_bfloat16PS2_EviT0_lT1_llT2_lli.uses_flat_scratch, 0
	.set _ZL26rocblas_haxpy_mod_8_kernelILi256EPKfPK16rocblas_bfloat16PS2_EviT0_lT1_llT2_lli.has_dyn_sized_stack, 0
	.set _ZL26rocblas_haxpy_mod_8_kernelILi256EPKfPK16rocblas_bfloat16PS2_EviT0_lT1_llT2_lli.has_recursion, 0
	.set _ZL26rocblas_haxpy_mod_8_kernelILi256EPKfPK16rocblas_bfloat16PS2_EviT0_lT1_llT2_lli.has_indirect_call, 0
	.section	.AMDGPU.csdata,"",@progbits
; Kernel info:
; codeLenInByte = 432
; TotalNumSgprs: 28
; NumVgprs: 5
; ScratchSize: 0
; MemoryBound: 0
; FloatMode: 240
; IeeeMode: 1
; LDSByteSize: 0 bytes/workgroup (compile time only)
; SGPRBlocks: 3
; VGPRBlocks: 1
; NumSGPRsForWavesPerEU: 28
; NumVGPRsForWavesPerEU: 5
; Occupancy: 10
; WaveLimiterHint : 0
; COMPUTE_PGM_RSRC2:SCRATCH_EN: 0
; COMPUTE_PGM_RSRC2:USER_SGPR: 6
; COMPUTE_PGM_RSRC2:TRAP_HANDLER: 0
; COMPUTE_PGM_RSRC2:TGID_X_EN: 1
; COMPUTE_PGM_RSRC2:TGID_Y_EN: 0
; COMPUTE_PGM_RSRC2:TGID_Z_EN: 1
; COMPUTE_PGM_RSRC2:TIDIG_COMP_CNT: 0
	.section	.text._ZL26rocblas_haxpy_mod_8_kernelILi256EfPK16rocblas_bfloat16PS0_EviT0_lT1_llT2_lli,"axG",@progbits,_ZL26rocblas_haxpy_mod_8_kernelILi256EfPK16rocblas_bfloat16PS0_EviT0_lT1_llT2_lli,comdat
	.globl	_ZL26rocblas_haxpy_mod_8_kernelILi256EfPK16rocblas_bfloat16PS0_EviT0_lT1_llT2_lli ; -- Begin function _ZL26rocblas_haxpy_mod_8_kernelILi256EfPK16rocblas_bfloat16PS0_EviT0_lT1_llT2_lli
	.p2align	8
	.type	_ZL26rocblas_haxpy_mod_8_kernelILi256EfPK16rocblas_bfloat16PS0_EviT0_lT1_llT2_lli,@function
_ZL26rocblas_haxpy_mod_8_kernelILi256EfPK16rocblas_bfloat16PS0_EviT0_lT1_llT2_lli: ; @_ZL26rocblas_haxpy_mod_8_kernelILi256EfPK16rocblas_bfloat16PS0_EviT0_lT1_llT2_lli
; %bb.0:
	s_load_dwordx2 s[16:17], s[4:5], 0x0
	v_lshl_or_b32 v0, s6, 8, v0
	v_mov_b32_e32 v1, 0
	s_waitcnt lgkmcnt(0)
	s_ashr_i32 s1, s16, 31
	s_mov_b32 s0, s16
	v_cmp_gt_i64_e32 vcc, s[0:1], v[0:1]
	v_cmp_neq_f32_e64 s[0:1], s17, 0
	s_and_b64 s[0:1], s[0:1], vcc
	s_and_saveexec_b64 s[2:3], s[0:1]
	s_cbranch_execz .LBB103_10
; %bb.1:
	s_load_dwordx8 s[8:15], s[4:5], 0x10
	v_lshlrev_b64 v[0:1], 1, v[0:1]
	s_waitcnt lgkmcnt(0)
	s_mul_i32 s1, s13, s7
	s_mul_hi_u32 s2, s12, s7
	s_mul_i32 s0, s12, s7
	s_add_i32 s1, s2, s1
	s_lshl_b64 s[0:1], s[0:1], 1
	s_add_u32 s2, s8, s0
	s_addc_u32 s3, s9, s1
	s_lshl_b64 s[0:1], s[10:11], 1
	s_add_u32 s0, s2, s0
	s_addc_u32 s1, s3, s1
	v_mov_b32_e32 v3, s1
	v_add_co_u32_e32 v2, vcc, s0, v0
	v_addc_co_u32_e32 v3, vcc, v3, v1, vcc
	global_load_ushort v2, v[2:3], off
	s_load_dwordx4 s[0:3], s[4:5], 0x30
	s_mov_b32 s4, 0x7f800000
	s_waitcnt vmcnt(0)
	v_lshlrev_b32_e32 v2, 16, v2
	v_mul_f32_e32 v3, s17, v2
	v_and_b32_e32 v2, 0x7f800000, v3
	v_cmp_ne_u32_e32 vcc, s4, v2
                                        ; implicit-def: $vgpr2
	s_and_saveexec_b64 s[4:5], vcc
	s_xor_b64 s[4:5], exec, s[4:5]
; %bb.2:
	v_bfe_u32 v2, v3, 16, 1
	s_movk_i32 s6, 0x7fff
	v_add3_u32 v2, v3, v2, s6
                                        ; implicit-def: $vgpr3
; %bb.3:
	s_andn2_saveexec_b64 s[4:5], s[4:5]
; %bb.4:
	v_mov_b32_e32 v2, 0
	v_or_b32_e32 v4, 0x10000, v3
	v_cmp_eq_u32_sdwa vcc, v3, v2 src0_sel:WORD_0 src1_sel:DWORD
	v_cndmask_b32_e32 v2, v4, v3, vcc
; %bb.5:
	s_or_b64 exec, exec, s[4:5]
	s_waitcnt lgkmcnt(0)
	s_mul_i32 s3, s3, s7
	s_mul_hi_u32 s4, s2, s7
	s_add_i32 s3, s4, s3
	s_mul_i32 s2, s2, s7
	s_lshl_b64 s[2:3], s[2:3], 1
	s_add_u32 s2, s14, s2
	s_addc_u32 s3, s15, s3
	s_lshl_b64 s[0:1], s[0:1], 1
	s_add_u32 s0, s2, s0
	s_addc_u32 s1, s3, s1
	v_mov_b32_e32 v3, s1
	v_add_co_u32_e32 v0, vcc, s0, v0
	v_addc_co_u32_e32 v1, vcc, v3, v1, vcc
	global_load_ushort v3, v[0:1], off
	v_and_b32_e32 v2, 0xffff0000, v2
	s_mov_b32 s0, 0x7f800000
	s_waitcnt vmcnt(0)
	v_lshlrev_b32_e32 v3, 16, v3
	v_add_f32_e32 v2, v2, v3
	v_and_b32_e32 v3, 0x7f800000, v2
	v_cmp_ne_u32_e32 vcc, s0, v3
                                        ; implicit-def: $vgpr3
	s_and_saveexec_b64 s[0:1], vcc
	s_xor_b64 s[0:1], exec, s[0:1]
; %bb.6:
	v_bfe_u32 v3, v2, 16, 1
	s_movk_i32 s2, 0x7fff
	v_add3_u32 v3, v2, v3, s2
                                        ; implicit-def: $vgpr2
; %bb.7:
	s_andn2_saveexec_b64 s[0:1], s[0:1]
; %bb.8:
	v_mov_b32_e32 v3, 0
	v_or_b32_e32 v4, 0x10000, v2
	v_cmp_eq_u32_sdwa vcc, v2, v3 src0_sel:WORD_0 src1_sel:DWORD
	v_cndmask_b32_e32 v3, v4, v2, vcc
; %bb.9:
	s_or_b64 exec, exec, s[0:1]
	global_store_short_d16_hi v[0:1], v3, off
.LBB103_10:
	s_endpgm
	.section	.rodata,"a",@progbits
	.p2align	6, 0x0
	.amdhsa_kernel _ZL26rocblas_haxpy_mod_8_kernelILi256EfPK16rocblas_bfloat16PS0_EviT0_lT1_llT2_lli
		.amdhsa_group_segment_fixed_size 0
		.amdhsa_private_segment_fixed_size 0
		.amdhsa_kernarg_size 68
		.amdhsa_user_sgpr_count 6
		.amdhsa_user_sgpr_private_segment_buffer 1
		.amdhsa_user_sgpr_dispatch_ptr 0
		.amdhsa_user_sgpr_queue_ptr 0
		.amdhsa_user_sgpr_kernarg_segment_ptr 1
		.amdhsa_user_sgpr_dispatch_id 0
		.amdhsa_user_sgpr_flat_scratch_init 0
		.amdhsa_user_sgpr_private_segment_size 0
		.amdhsa_uses_dynamic_stack 0
		.amdhsa_system_sgpr_private_segment_wavefront_offset 0
		.amdhsa_system_sgpr_workgroup_id_x 1
		.amdhsa_system_sgpr_workgroup_id_y 0
		.amdhsa_system_sgpr_workgroup_id_z 1
		.amdhsa_system_sgpr_workgroup_info 0
		.amdhsa_system_vgpr_workitem_id 0
		.amdhsa_next_free_vgpr 5
		.amdhsa_next_free_sgpr 18
		.amdhsa_reserve_vcc 1
		.amdhsa_reserve_flat_scratch 0
		.amdhsa_float_round_mode_32 0
		.amdhsa_float_round_mode_16_64 0
		.amdhsa_float_denorm_mode_32 3
		.amdhsa_float_denorm_mode_16_64 3
		.amdhsa_dx10_clamp 1
		.amdhsa_ieee_mode 1
		.amdhsa_fp16_overflow 0
		.amdhsa_exception_fp_ieee_invalid_op 0
		.amdhsa_exception_fp_denorm_src 0
		.amdhsa_exception_fp_ieee_div_zero 0
		.amdhsa_exception_fp_ieee_overflow 0
		.amdhsa_exception_fp_ieee_underflow 0
		.amdhsa_exception_fp_ieee_inexact 0
		.amdhsa_exception_int_div_zero 0
	.end_amdhsa_kernel
	.section	.text._ZL26rocblas_haxpy_mod_8_kernelILi256EfPK16rocblas_bfloat16PS0_EviT0_lT1_llT2_lli,"axG",@progbits,_ZL26rocblas_haxpy_mod_8_kernelILi256EfPK16rocblas_bfloat16PS0_EviT0_lT1_llT2_lli,comdat
.Lfunc_end103:
	.size	_ZL26rocblas_haxpy_mod_8_kernelILi256EfPK16rocblas_bfloat16PS0_EviT0_lT1_llT2_lli, .Lfunc_end103-_ZL26rocblas_haxpy_mod_8_kernelILi256EfPK16rocblas_bfloat16PS0_EviT0_lT1_llT2_lli
                                        ; -- End function
	.set _ZL26rocblas_haxpy_mod_8_kernelILi256EfPK16rocblas_bfloat16PS0_EviT0_lT1_llT2_lli.num_vgpr, 5
	.set _ZL26rocblas_haxpy_mod_8_kernelILi256EfPK16rocblas_bfloat16PS0_EviT0_lT1_llT2_lli.num_agpr, 0
	.set _ZL26rocblas_haxpy_mod_8_kernelILi256EfPK16rocblas_bfloat16PS0_EviT0_lT1_llT2_lli.numbered_sgpr, 18
	.set _ZL26rocblas_haxpy_mod_8_kernelILi256EfPK16rocblas_bfloat16PS0_EviT0_lT1_llT2_lli.num_named_barrier, 0
	.set _ZL26rocblas_haxpy_mod_8_kernelILi256EfPK16rocblas_bfloat16PS0_EviT0_lT1_llT2_lli.private_seg_size, 0
	.set _ZL26rocblas_haxpy_mod_8_kernelILi256EfPK16rocblas_bfloat16PS0_EviT0_lT1_llT2_lli.uses_vcc, 1
	.set _ZL26rocblas_haxpy_mod_8_kernelILi256EfPK16rocblas_bfloat16PS0_EviT0_lT1_llT2_lli.uses_flat_scratch, 0
	.set _ZL26rocblas_haxpy_mod_8_kernelILi256EfPK16rocblas_bfloat16PS0_EviT0_lT1_llT2_lli.has_dyn_sized_stack, 0
	.set _ZL26rocblas_haxpy_mod_8_kernelILi256EfPK16rocblas_bfloat16PS0_EviT0_lT1_llT2_lli.has_recursion, 0
	.set _ZL26rocblas_haxpy_mod_8_kernelILi256EfPK16rocblas_bfloat16PS0_EviT0_lT1_llT2_lli.has_indirect_call, 0
	.section	.AMDGPU.csdata,"",@progbits
; Kernel info:
; codeLenInByte = 412
; TotalNumSgprs: 22
; NumVgprs: 5
; ScratchSize: 0
; MemoryBound: 0
; FloatMode: 240
; IeeeMode: 1
; LDSByteSize: 0 bytes/workgroup (compile time only)
; SGPRBlocks: 2
; VGPRBlocks: 1
; NumSGPRsForWavesPerEU: 22
; NumVGPRsForWavesPerEU: 5
; Occupancy: 10
; WaveLimiterHint : 0
; COMPUTE_PGM_RSRC2:SCRATCH_EN: 0
; COMPUTE_PGM_RSRC2:USER_SGPR: 6
; COMPUTE_PGM_RSRC2:TRAP_HANDLER: 0
; COMPUTE_PGM_RSRC2:TGID_X_EN: 1
; COMPUTE_PGM_RSRC2:TGID_Y_EN: 0
; COMPUTE_PGM_RSRC2:TGID_Z_EN: 1
; COMPUTE_PGM_RSRC2:TIDIG_COMP_CNT: 0
	.section	.text._ZL22rocblas_saxpy_2_kernelILi256EfPKfPK16rocblas_bfloat16PS2_EviT1_lT2_llT3_lli,"axG",@progbits,_ZL22rocblas_saxpy_2_kernelILi256EfPKfPK16rocblas_bfloat16PS2_EviT1_lT2_llT3_lli,comdat
	.globl	_ZL22rocblas_saxpy_2_kernelILi256EfPKfPK16rocblas_bfloat16PS2_EviT1_lT2_llT3_lli ; -- Begin function _ZL22rocblas_saxpy_2_kernelILi256EfPKfPK16rocblas_bfloat16PS2_EviT1_lT2_llT3_lli
	.p2align	8
	.type	_ZL22rocblas_saxpy_2_kernelILi256EfPKfPK16rocblas_bfloat16PS2_EviT1_lT2_llT3_lli,@function
_ZL22rocblas_saxpy_2_kernelILi256EfPKfPK16rocblas_bfloat16PS2_EviT1_lT2_llT3_lli: ; @_ZL22rocblas_saxpy_2_kernelILi256EfPKfPK16rocblas_bfloat16PS2_EviT1_lT2_llT3_lli
; %bb.0:
	s_load_dwordx4 s[0:3], s[4:5], 0x8
	s_waitcnt lgkmcnt(0)
	s_mul_i32 s3, s3, s7
	s_mul_hi_u32 s8, s2, s7
	s_add_i32 s3, s8, s3
	s_mul_i32 s2, s2, s7
	s_lshl_b64 s[2:3], s[2:3], 2
	s_add_u32 s0, s0, s2
	s_addc_u32 s1, s1, s3
	s_load_dword s8, s[0:1], 0x0
	s_waitcnt lgkmcnt(0)
	v_cmp_eq_f32_e64 s[0:1], s8, 0
	s_and_b64 vcc, exec, s[0:1]
	s_cbranch_vccnz .LBB104_29
; %bb.1:
	s_load_dwordx2 s[10:11], s[4:5], 0x18
	s_load_dword s9, s[4:5], 0x0
	s_load_dwordx2 s[16:17], s[4:5], 0x30
	s_load_dwordx4 s[0:3], s[4:5], 0x20
	s_load_dwordx4 s[12:15], s[4:5], 0x38
	v_lshlrev_b32_e32 v0, 1, v0
	v_lshl_or_b32 v0, s6, 9, v0
	v_mov_b32_e32 v1, 0
	s_waitcnt lgkmcnt(0)
	s_mul_i32 s3, s3, s7
	s_mul_hi_u32 s4, s2, s7
	s_add_i32 s3, s4, s3
	s_mul_i32 s2, s2, s7
	s_lshl_b64 s[2:3], s[2:3], 1
	s_add_u32 s2, s10, s2
	s_addc_u32 s3, s11, s3
	s_lshl_b64 s[0:1], s[0:1], 1
	s_add_u32 s6, s2, s0
	s_addc_u32 s10, s3, s1
	s_mul_i32 s0, s15, s7
	s_mul_hi_u32 s1, s14, s7
	s_add_i32 s1, s1, s0
	s_mul_i32 s0, s14, s7
	s_lshl_b64 s[0:1], s[0:1], 1
	s_add_u32 s2, s16, s0
	s_addc_u32 s3, s17, s1
	s_lshl_b64 s[0:1], s[12:13], 1
	s_add_u32 s7, s2, s0
	s_addc_u32 s11, s3, s1
	s_add_i32 s0, s9, -1
	s_ashr_i32 s1, s0, 31
	v_cmp_gt_i64_e32 vcc, s[0:1], v[0:1]
	v_lshlrev_b64 v[2:3], 1, v[0:1]
	s_and_saveexec_b64 s[2:3], vcc
	s_cbranch_execz .LBB104_19
; %bb.2:
	v_mov_b32_e32 v4, s10
	v_add_co_u32_e32 v6, vcc, s6, v2
	v_addc_co_u32_e32 v7, vcc, v4, v3, vcc
	global_load_ushort v9, v[6:7], off
	v_mov_b32_e32 v5, s11
	v_add_co_u32_e32 v4, vcc, s7, v2
	v_addc_co_u32_e32 v5, vcc, v5, v3, vcc
	global_load_ushort v8, v[4:5], off
	s_mov_b32 s4, 0x7f800000
	s_waitcnt vmcnt(1)
	v_lshlrev_b32_e32 v9, 16, v9
	v_mul_f32_e32 v9, s8, v9
	v_and_b32_e32 v10, 0x7f800000, v9
	v_cmp_ne_u32_e32 vcc, s4, v10
                                        ; implicit-def: $vgpr10
	s_and_saveexec_b64 s[4:5], vcc
	s_xor_b64 s[4:5], exec, s[4:5]
; %bb.3:
	v_bfe_u32 v10, v9, 16, 1
	s_movk_i32 s12, 0x7fff
	v_add3_u32 v10, v9, v10, s12
                                        ; implicit-def: $vgpr9
; %bb.4:
	s_andn2_saveexec_b64 s[4:5], s[4:5]
; %bb.5:
	v_mov_b32_e32 v10, 0
	v_or_b32_e32 v11, 0x10000, v9
	v_cmp_eq_u32_sdwa vcc, v9, v10 src0_sel:WORD_0 src1_sel:DWORD
	v_cndmask_b32_e32 v10, v11, v9, vcc
; %bb.6:
	s_or_b64 exec, exec, s[4:5]
	v_and_b32_e32 v9, 0xffff0000, v10
	s_waitcnt vmcnt(0)
	v_lshlrev_b32_e32 v8, 16, v8
	v_add_f32_e32 v8, v8, v9
	s_mov_b32 s4, 0x7f800000
	v_and_b32_e32 v9, 0x7f800000, v8
	v_cmp_ne_u32_e32 vcc, s4, v9
                                        ; implicit-def: $vgpr9
	s_and_saveexec_b64 s[4:5], vcc
	s_xor_b64 s[4:5], exec, s[4:5]
; %bb.7:
	v_bfe_u32 v9, v8, 16, 1
	s_movk_i32 s12, 0x7fff
	v_add3_u32 v9, v8, v9, s12
                                        ; implicit-def: $vgpr8
; %bb.8:
	s_andn2_saveexec_b64 s[4:5], s[4:5]
; %bb.9:
	v_mov_b32_e32 v9, 0
	v_or_b32_e32 v10, 0x10000, v8
	v_cmp_eq_u32_sdwa vcc, v8, v9 src0_sel:WORD_0 src1_sel:DWORD
	v_cndmask_b32_e32 v9, v10, v8, vcc
; %bb.10:
	s_or_b64 exec, exec, s[4:5]
	global_load_ushort v10, v[6:7], off offset:2
	global_load_ushort v8, v[4:5], off offset:2
	s_mov_b32 s4, 0x7f800000
	global_store_short_d16_hi v[4:5], v9, off
	s_waitcnt vmcnt(2)
	v_lshlrev_b32_e32 v6, 16, v10
	v_mul_f32_e32 v6, s8, v6
	v_and_b32_e32 v7, 0x7f800000, v6
	v_cmp_ne_u32_e32 vcc, s4, v7
                                        ; implicit-def: $vgpr7
	s_and_saveexec_b64 s[4:5], vcc
	s_xor_b64 s[4:5], exec, s[4:5]
; %bb.11:
	v_bfe_u32 v7, v6, 16, 1
	s_movk_i32 s12, 0x7fff
	v_add3_u32 v7, v6, v7, s12
                                        ; implicit-def: $vgpr6
; %bb.12:
	s_andn2_saveexec_b64 s[4:5], s[4:5]
; %bb.13:
	v_mov_b32_e32 v7, 0
	v_or_b32_e32 v9, 0x10000, v6
	v_cmp_eq_u32_sdwa vcc, v6, v7 src0_sel:WORD_0 src1_sel:DWORD
	v_cndmask_b32_e32 v7, v9, v6, vcc
; %bb.14:
	s_or_b64 exec, exec, s[4:5]
	v_and_b32_e32 v6, 0xffff0000, v7
	s_waitcnt vmcnt(1)
	v_lshlrev_b32_e32 v7, 16, v8
	v_add_f32_e32 v6, v7, v6
	s_mov_b32 s4, 0x7f800000
	v_and_b32_e32 v7, 0x7f800000, v6
	v_cmp_ne_u32_e32 vcc, s4, v7
                                        ; implicit-def: $vgpr7
	s_and_saveexec_b64 s[4:5], vcc
	s_xor_b64 s[4:5], exec, s[4:5]
; %bb.15:
	v_bfe_u32 v7, v6, 16, 1
	s_movk_i32 s12, 0x7fff
	v_add3_u32 v7, v6, v7, s12
                                        ; implicit-def: $vgpr6
; %bb.16:
	s_andn2_saveexec_b64 s[4:5], s[4:5]
; %bb.17:
	v_mov_b32_e32 v7, 0
	v_or_b32_e32 v8, 0x10000, v6
	v_cmp_eq_u32_sdwa vcc, v6, v7 src0_sel:WORD_0 src1_sel:DWORD
	v_cndmask_b32_e32 v7, v8, v6, vcc
; %bb.18:
	s_or_b64 exec, exec, s[4:5]
	global_store_short_d16_hi v[4:5], v7, off offset:2
.LBB104_19:
	s_or_b64 exec, exec, s[2:3]
	s_bitcmp1_b32 s9, 0
	v_cmp_eq_u64_e32 vcc, s[0:1], v[0:1]
	s_cselect_b64 s[0:1], -1, 0
	s_and_b64 s[0:1], s[0:1], vcc
	s_and_saveexec_b64 s[2:3], s[0:1]
	s_cbranch_execz .LBB104_29
; %bb.20:
	v_mov_b32_e32 v1, s10
	v_add_co_u32_e32 v0, vcc, s6, v2
	v_addc_co_u32_e32 v1, vcc, v1, v3, vcc
	global_load_ushort v5, v[0:1], off
	v_mov_b32_e32 v4, s11
	v_add_co_u32_e32 v0, vcc, s7, v2
	v_addc_co_u32_e32 v1, vcc, v4, v3, vcc
	global_load_ushort v2, v[0:1], off
	s_mov_b32 s0, 0x7f800000
	s_waitcnt vmcnt(1)
	v_lshlrev_b32_e32 v3, 16, v5
	v_mul_f32_e32 v3, s8, v3
	v_and_b32_e32 v4, 0x7f800000, v3
	v_cmp_ne_u32_e32 vcc, s0, v4
                                        ; implicit-def: $vgpr4
	s_and_saveexec_b64 s[0:1], vcc
	s_xor_b64 s[0:1], exec, s[0:1]
; %bb.21:
	v_bfe_u32 v4, v3, 16, 1
	s_movk_i32 s2, 0x7fff
	v_add3_u32 v4, v3, v4, s2
                                        ; implicit-def: $vgpr3
; %bb.22:
	s_andn2_saveexec_b64 s[0:1], s[0:1]
; %bb.23:
	v_mov_b32_e32 v4, 0
	v_or_b32_e32 v5, 0x10000, v3
	v_cmp_eq_u32_sdwa vcc, v3, v4 src0_sel:WORD_0 src1_sel:DWORD
	v_cndmask_b32_e32 v4, v5, v3, vcc
; %bb.24:
	s_or_b64 exec, exec, s[0:1]
	v_and_b32_e32 v3, 0xffff0000, v4
	s_waitcnt vmcnt(0)
	v_lshlrev_b32_e32 v2, 16, v2
	v_add_f32_e32 v2, v2, v3
	s_mov_b32 s0, 0x7f800000
	v_and_b32_e32 v3, 0x7f800000, v2
	v_cmp_ne_u32_e32 vcc, s0, v3
                                        ; implicit-def: $vgpr3
	s_and_saveexec_b64 s[0:1], vcc
	s_xor_b64 s[0:1], exec, s[0:1]
; %bb.25:
	v_bfe_u32 v3, v2, 16, 1
	s_movk_i32 s2, 0x7fff
	v_add3_u32 v3, v2, v3, s2
                                        ; implicit-def: $vgpr2
; %bb.26:
	s_andn2_saveexec_b64 s[0:1], s[0:1]
; %bb.27:
	v_mov_b32_e32 v3, 0
	v_or_b32_e32 v4, 0x10000, v2
	v_cmp_eq_u32_sdwa vcc, v2, v3 src0_sel:WORD_0 src1_sel:DWORD
	v_cndmask_b32_e32 v3, v4, v2, vcc
; %bb.28:
	s_or_b64 exec, exec, s[0:1]
	global_store_short_d16_hi v[0:1], v3, off
.LBB104_29:
	s_endpgm
	.section	.rodata,"a",@progbits
	.p2align	6, 0x0
	.amdhsa_kernel _ZL22rocblas_saxpy_2_kernelILi256EfPKfPK16rocblas_bfloat16PS2_EviT1_lT2_llT3_lli
		.amdhsa_group_segment_fixed_size 0
		.amdhsa_private_segment_fixed_size 0
		.amdhsa_kernarg_size 76
		.amdhsa_user_sgpr_count 6
		.amdhsa_user_sgpr_private_segment_buffer 1
		.amdhsa_user_sgpr_dispatch_ptr 0
		.amdhsa_user_sgpr_queue_ptr 0
		.amdhsa_user_sgpr_kernarg_segment_ptr 1
		.amdhsa_user_sgpr_dispatch_id 0
		.amdhsa_user_sgpr_flat_scratch_init 0
		.amdhsa_user_sgpr_private_segment_size 0
		.amdhsa_uses_dynamic_stack 0
		.amdhsa_system_sgpr_private_segment_wavefront_offset 0
		.amdhsa_system_sgpr_workgroup_id_x 1
		.amdhsa_system_sgpr_workgroup_id_y 0
		.amdhsa_system_sgpr_workgroup_id_z 1
		.amdhsa_system_sgpr_workgroup_info 0
		.amdhsa_system_vgpr_workitem_id 0
		.amdhsa_next_free_vgpr 12
		.amdhsa_next_free_sgpr 18
		.amdhsa_reserve_vcc 1
		.amdhsa_reserve_flat_scratch 0
		.amdhsa_float_round_mode_32 0
		.amdhsa_float_round_mode_16_64 0
		.amdhsa_float_denorm_mode_32 3
		.amdhsa_float_denorm_mode_16_64 3
		.amdhsa_dx10_clamp 1
		.amdhsa_ieee_mode 1
		.amdhsa_fp16_overflow 0
		.amdhsa_exception_fp_ieee_invalid_op 0
		.amdhsa_exception_fp_denorm_src 0
		.amdhsa_exception_fp_ieee_div_zero 0
		.amdhsa_exception_fp_ieee_overflow 0
		.amdhsa_exception_fp_ieee_underflow 0
		.amdhsa_exception_fp_ieee_inexact 0
		.amdhsa_exception_int_div_zero 0
	.end_amdhsa_kernel
	.section	.text._ZL22rocblas_saxpy_2_kernelILi256EfPKfPK16rocblas_bfloat16PS2_EviT1_lT2_llT3_lli,"axG",@progbits,_ZL22rocblas_saxpy_2_kernelILi256EfPKfPK16rocblas_bfloat16PS2_EviT1_lT2_llT3_lli,comdat
.Lfunc_end104:
	.size	_ZL22rocblas_saxpy_2_kernelILi256EfPKfPK16rocblas_bfloat16PS2_EviT1_lT2_llT3_lli, .Lfunc_end104-_ZL22rocblas_saxpy_2_kernelILi256EfPKfPK16rocblas_bfloat16PS2_EviT1_lT2_llT3_lli
                                        ; -- End function
	.set _ZL22rocblas_saxpy_2_kernelILi256EfPKfPK16rocblas_bfloat16PS2_EviT1_lT2_llT3_lli.num_vgpr, 12
	.set _ZL22rocblas_saxpy_2_kernelILi256EfPKfPK16rocblas_bfloat16PS2_EviT1_lT2_llT3_lli.num_agpr, 0
	.set _ZL22rocblas_saxpy_2_kernelILi256EfPKfPK16rocblas_bfloat16PS2_EviT1_lT2_llT3_lli.numbered_sgpr, 18
	.set _ZL22rocblas_saxpy_2_kernelILi256EfPKfPK16rocblas_bfloat16PS2_EviT1_lT2_llT3_lli.num_named_barrier, 0
	.set _ZL22rocblas_saxpy_2_kernelILi256EfPKfPK16rocblas_bfloat16PS2_EviT1_lT2_llT3_lli.private_seg_size, 0
	.set _ZL22rocblas_saxpy_2_kernelILi256EfPKfPK16rocblas_bfloat16PS2_EviT1_lT2_llT3_lli.uses_vcc, 1
	.set _ZL22rocblas_saxpy_2_kernelILi256EfPKfPK16rocblas_bfloat16PS2_EviT1_lT2_llT3_lli.uses_flat_scratch, 0
	.set _ZL22rocblas_saxpy_2_kernelILi256EfPKfPK16rocblas_bfloat16PS2_EviT1_lT2_llT3_lli.has_dyn_sized_stack, 0
	.set _ZL22rocblas_saxpy_2_kernelILi256EfPKfPK16rocblas_bfloat16PS2_EviT1_lT2_llT3_lli.has_recursion, 0
	.set _ZL22rocblas_saxpy_2_kernelILi256EfPKfPK16rocblas_bfloat16PS2_EviT1_lT2_llT3_lli.has_indirect_call, 0
	.section	.AMDGPU.csdata,"",@progbits
; Kernel info:
; codeLenInByte = 964
; TotalNumSgprs: 22
; NumVgprs: 12
; ScratchSize: 0
; MemoryBound: 0
; FloatMode: 240
; IeeeMode: 1
; LDSByteSize: 0 bytes/workgroup (compile time only)
; SGPRBlocks: 2
; VGPRBlocks: 2
; NumSGPRsForWavesPerEU: 22
; NumVGPRsForWavesPerEU: 12
; Occupancy: 10
; WaveLimiterHint : 0
; COMPUTE_PGM_RSRC2:SCRATCH_EN: 0
; COMPUTE_PGM_RSRC2:USER_SGPR: 6
; COMPUTE_PGM_RSRC2:TRAP_HANDLER: 0
; COMPUTE_PGM_RSRC2:TGID_X_EN: 1
; COMPUTE_PGM_RSRC2:TGID_Y_EN: 0
; COMPUTE_PGM_RSRC2:TGID_Z_EN: 1
; COMPUTE_PGM_RSRC2:TIDIG_COMP_CNT: 0
	.section	.text._ZL22rocblas_saxpy_2_kernelILi256EffPK16rocblas_bfloat16PS0_EviT1_lT2_llT3_lli,"axG",@progbits,_ZL22rocblas_saxpy_2_kernelILi256EffPK16rocblas_bfloat16PS0_EviT1_lT2_llT3_lli,comdat
	.globl	_ZL22rocblas_saxpy_2_kernelILi256EffPK16rocblas_bfloat16PS0_EviT1_lT2_llT3_lli ; -- Begin function _ZL22rocblas_saxpy_2_kernelILi256EffPK16rocblas_bfloat16PS0_EviT1_lT2_llT3_lli
	.p2align	8
	.type	_ZL22rocblas_saxpy_2_kernelILi256EffPK16rocblas_bfloat16PS0_EviT1_lT2_llT3_lli,@function
_ZL22rocblas_saxpy_2_kernelILi256EffPK16rocblas_bfloat16PS0_EviT1_lT2_llT3_lli: ; @_ZL22rocblas_saxpy_2_kernelILi256EffPK16rocblas_bfloat16PS0_EviT1_lT2_llT3_lli
; %bb.0:
	s_load_dwordx2 s[0:1], s[4:5], 0x0
	s_waitcnt lgkmcnt(0)
	v_cmp_eq_f32_e64 s[2:3], s1, 0
	s_and_b64 vcc, exec, s[2:3]
	s_cbranch_vccnz .LBB105_29
; %bb.1:
	s_load_dwordx2 s[2:3], s[4:5], 0x10
	s_load_dwordx4 s[8:11], s[4:5], 0x18
	s_load_dwordx2 s[16:17], s[4:5], 0x28
	s_load_dwordx4 s[12:15], s[4:5], 0x30
	v_lshlrev_b32_e32 v0, 1, v0
	v_lshl_or_b32 v0, s6, 9, v0
	s_waitcnt lgkmcnt(0)
	s_mul_i32 s4, s11, s7
	s_mul_hi_u32 s5, s10, s7
	s_add_i32 s5, s5, s4
	s_mul_i32 s4, s10, s7
	s_lshl_b64 s[4:5], s[4:5], 1
	s_add_u32 s4, s2, s4
	s_addc_u32 s5, s3, s5
	s_lshl_b64 s[2:3], s[8:9], 1
	s_add_u32 s8, s4, s2
	s_addc_u32 s9, s5, s3
	s_mul_i32 s2, s15, s7
	s_mul_hi_u32 s3, s14, s7
	s_add_i32 s3, s3, s2
	s_mul_i32 s2, s14, s7
	s_lshl_b64 s[2:3], s[2:3], 1
	s_add_u32 s4, s16, s2
	s_addc_u32 s5, s17, s3
	s_lshl_b64 s[2:3], s[12:13], 1
	s_add_u32 s10, s4, s2
	s_addc_u32 s11, s5, s3
	s_add_i32 s2, s0, -1
	v_mov_b32_e32 v1, 0
	s_ashr_i32 s3, s2, 31
	v_cmp_gt_i64_e32 vcc, s[2:3], v[0:1]
	v_lshlrev_b64 v[2:3], 1, v[0:1]
	s_and_saveexec_b64 s[4:5], vcc
	s_cbranch_execz .LBB105_19
; %bb.2:
	v_mov_b32_e32 v4, s9
	v_add_co_u32_e32 v6, vcc, s8, v2
	v_addc_co_u32_e32 v7, vcc, v4, v3, vcc
	global_load_ushort v9, v[6:7], off
	v_mov_b32_e32 v5, s11
	v_add_co_u32_e32 v4, vcc, s10, v2
	v_addc_co_u32_e32 v5, vcc, v5, v3, vcc
	global_load_ushort v8, v[4:5], off
	s_mov_b32 s6, 0x7f800000
	s_waitcnt vmcnt(1)
	v_lshlrev_b32_e32 v9, 16, v9
	v_mul_f32_e32 v9, s1, v9
	v_and_b32_e32 v10, 0x7f800000, v9
	v_cmp_ne_u32_e32 vcc, s6, v10
                                        ; implicit-def: $vgpr10
	s_and_saveexec_b64 s[6:7], vcc
	s_xor_b64 s[6:7], exec, s[6:7]
; %bb.3:
	v_bfe_u32 v10, v9, 16, 1
	s_movk_i32 s12, 0x7fff
	v_add3_u32 v10, v9, v10, s12
                                        ; implicit-def: $vgpr9
; %bb.4:
	s_andn2_saveexec_b64 s[6:7], s[6:7]
; %bb.5:
	v_mov_b32_e32 v10, 0
	v_or_b32_e32 v11, 0x10000, v9
	v_cmp_eq_u32_sdwa vcc, v9, v10 src0_sel:WORD_0 src1_sel:DWORD
	v_cndmask_b32_e32 v10, v11, v9, vcc
; %bb.6:
	s_or_b64 exec, exec, s[6:7]
	v_and_b32_e32 v9, 0xffff0000, v10
	s_waitcnt vmcnt(0)
	v_lshlrev_b32_e32 v8, 16, v8
	v_add_f32_e32 v8, v8, v9
	s_mov_b32 s6, 0x7f800000
	v_and_b32_e32 v9, 0x7f800000, v8
	v_cmp_ne_u32_e32 vcc, s6, v9
                                        ; implicit-def: $vgpr9
	s_and_saveexec_b64 s[6:7], vcc
	s_xor_b64 s[6:7], exec, s[6:7]
; %bb.7:
	v_bfe_u32 v9, v8, 16, 1
	s_movk_i32 s12, 0x7fff
	v_add3_u32 v9, v8, v9, s12
                                        ; implicit-def: $vgpr8
; %bb.8:
	s_andn2_saveexec_b64 s[6:7], s[6:7]
; %bb.9:
	v_mov_b32_e32 v9, 0
	v_or_b32_e32 v10, 0x10000, v8
	v_cmp_eq_u32_sdwa vcc, v8, v9 src0_sel:WORD_0 src1_sel:DWORD
	v_cndmask_b32_e32 v9, v10, v8, vcc
; %bb.10:
	s_or_b64 exec, exec, s[6:7]
	global_load_ushort v10, v[6:7], off offset:2
	global_load_ushort v8, v[4:5], off offset:2
	s_mov_b32 s6, 0x7f800000
	global_store_short_d16_hi v[4:5], v9, off
	s_waitcnt vmcnt(2)
	v_lshlrev_b32_e32 v6, 16, v10
	v_mul_f32_e32 v6, s1, v6
	v_and_b32_e32 v7, 0x7f800000, v6
	v_cmp_ne_u32_e32 vcc, s6, v7
                                        ; implicit-def: $vgpr7
	s_and_saveexec_b64 s[6:7], vcc
	s_xor_b64 s[6:7], exec, s[6:7]
; %bb.11:
	v_bfe_u32 v7, v6, 16, 1
	s_movk_i32 s12, 0x7fff
	v_add3_u32 v7, v6, v7, s12
                                        ; implicit-def: $vgpr6
; %bb.12:
	s_andn2_saveexec_b64 s[6:7], s[6:7]
; %bb.13:
	v_mov_b32_e32 v7, 0
	v_or_b32_e32 v9, 0x10000, v6
	v_cmp_eq_u32_sdwa vcc, v6, v7 src0_sel:WORD_0 src1_sel:DWORD
	v_cndmask_b32_e32 v7, v9, v6, vcc
; %bb.14:
	s_or_b64 exec, exec, s[6:7]
	v_and_b32_e32 v6, 0xffff0000, v7
	s_waitcnt vmcnt(1)
	v_lshlrev_b32_e32 v7, 16, v8
	v_add_f32_e32 v6, v7, v6
	s_mov_b32 s6, 0x7f800000
	v_and_b32_e32 v7, 0x7f800000, v6
	v_cmp_ne_u32_e32 vcc, s6, v7
                                        ; implicit-def: $vgpr7
	s_and_saveexec_b64 s[6:7], vcc
	s_xor_b64 s[6:7], exec, s[6:7]
; %bb.15:
	v_bfe_u32 v7, v6, 16, 1
	s_movk_i32 s12, 0x7fff
	v_add3_u32 v7, v6, v7, s12
                                        ; implicit-def: $vgpr6
; %bb.16:
	s_andn2_saveexec_b64 s[6:7], s[6:7]
; %bb.17:
	v_mov_b32_e32 v7, 0
	v_or_b32_e32 v8, 0x10000, v6
	v_cmp_eq_u32_sdwa vcc, v6, v7 src0_sel:WORD_0 src1_sel:DWORD
	v_cndmask_b32_e32 v7, v8, v6, vcc
; %bb.18:
	s_or_b64 exec, exec, s[6:7]
	global_store_short_d16_hi v[4:5], v7, off offset:2
.LBB105_19:
	s_or_b64 exec, exec, s[4:5]
	s_bitcmp1_b32 s0, 0
	v_cmp_eq_u64_e32 vcc, s[2:3], v[0:1]
	s_cselect_b64 s[2:3], -1, 0
	s_and_b64 s[2:3], s[2:3], vcc
	s_and_saveexec_b64 s[4:5], s[2:3]
	s_cbranch_execz .LBB105_29
; %bb.20:
	v_mov_b32_e32 v1, s9
	v_add_co_u32_e32 v0, vcc, s8, v2
	v_addc_co_u32_e32 v1, vcc, v1, v3, vcc
	global_load_ushort v5, v[0:1], off
	v_mov_b32_e32 v4, s11
	v_add_co_u32_e32 v0, vcc, s10, v2
	v_addc_co_u32_e32 v1, vcc, v4, v3, vcc
	global_load_ushort v2, v[0:1], off
	s_mov_b32 s0, 0x7f800000
	s_waitcnt vmcnt(1)
	v_lshlrev_b32_e32 v3, 16, v5
	v_mul_f32_e32 v3, s1, v3
	v_and_b32_e32 v4, 0x7f800000, v3
	v_cmp_ne_u32_e32 vcc, s0, v4
                                        ; implicit-def: $vgpr4
	s_and_saveexec_b64 s[0:1], vcc
	s_xor_b64 s[0:1], exec, s[0:1]
; %bb.21:
	v_bfe_u32 v4, v3, 16, 1
	s_movk_i32 s2, 0x7fff
	v_add3_u32 v4, v3, v4, s2
                                        ; implicit-def: $vgpr3
; %bb.22:
	s_andn2_saveexec_b64 s[0:1], s[0:1]
; %bb.23:
	v_mov_b32_e32 v4, 0
	v_or_b32_e32 v5, 0x10000, v3
	v_cmp_eq_u32_sdwa vcc, v3, v4 src0_sel:WORD_0 src1_sel:DWORD
	v_cndmask_b32_e32 v4, v5, v3, vcc
; %bb.24:
	s_or_b64 exec, exec, s[0:1]
	v_and_b32_e32 v3, 0xffff0000, v4
	s_waitcnt vmcnt(0)
	v_lshlrev_b32_e32 v2, 16, v2
	v_add_f32_e32 v2, v2, v3
	s_mov_b32 s0, 0x7f800000
	v_and_b32_e32 v3, 0x7f800000, v2
	v_cmp_ne_u32_e32 vcc, s0, v3
                                        ; implicit-def: $vgpr3
	s_and_saveexec_b64 s[0:1], vcc
	s_xor_b64 s[0:1], exec, s[0:1]
; %bb.25:
	v_bfe_u32 v3, v2, 16, 1
	s_movk_i32 s2, 0x7fff
	v_add3_u32 v3, v2, v3, s2
                                        ; implicit-def: $vgpr2
; %bb.26:
	s_andn2_saveexec_b64 s[0:1], s[0:1]
; %bb.27:
	v_mov_b32_e32 v3, 0
	v_or_b32_e32 v4, 0x10000, v2
	v_cmp_eq_u32_sdwa vcc, v2, v3 src0_sel:WORD_0 src1_sel:DWORD
	v_cndmask_b32_e32 v3, v4, v2, vcc
; %bb.28:
	s_or_b64 exec, exec, s[0:1]
	global_store_short_d16_hi v[0:1], v3, off
.LBB105_29:
	s_endpgm
	.section	.rodata,"a",@progbits
	.p2align	6, 0x0
	.amdhsa_kernel _ZL22rocblas_saxpy_2_kernelILi256EffPK16rocblas_bfloat16PS0_EviT1_lT2_llT3_lli
		.amdhsa_group_segment_fixed_size 0
		.amdhsa_private_segment_fixed_size 0
		.amdhsa_kernarg_size 68
		.amdhsa_user_sgpr_count 6
		.amdhsa_user_sgpr_private_segment_buffer 1
		.amdhsa_user_sgpr_dispatch_ptr 0
		.amdhsa_user_sgpr_queue_ptr 0
		.amdhsa_user_sgpr_kernarg_segment_ptr 1
		.amdhsa_user_sgpr_dispatch_id 0
		.amdhsa_user_sgpr_flat_scratch_init 0
		.amdhsa_user_sgpr_private_segment_size 0
		.amdhsa_uses_dynamic_stack 0
		.amdhsa_system_sgpr_private_segment_wavefront_offset 0
		.amdhsa_system_sgpr_workgroup_id_x 1
		.amdhsa_system_sgpr_workgroup_id_y 0
		.amdhsa_system_sgpr_workgroup_id_z 1
		.amdhsa_system_sgpr_workgroup_info 0
		.amdhsa_system_vgpr_workitem_id 0
		.amdhsa_next_free_vgpr 12
		.amdhsa_next_free_sgpr 18
		.amdhsa_reserve_vcc 1
		.amdhsa_reserve_flat_scratch 0
		.amdhsa_float_round_mode_32 0
		.amdhsa_float_round_mode_16_64 0
		.amdhsa_float_denorm_mode_32 3
		.amdhsa_float_denorm_mode_16_64 3
		.amdhsa_dx10_clamp 1
		.amdhsa_ieee_mode 1
		.amdhsa_fp16_overflow 0
		.amdhsa_exception_fp_ieee_invalid_op 0
		.amdhsa_exception_fp_denorm_src 0
		.amdhsa_exception_fp_ieee_div_zero 0
		.amdhsa_exception_fp_ieee_overflow 0
		.amdhsa_exception_fp_ieee_underflow 0
		.amdhsa_exception_fp_ieee_inexact 0
		.amdhsa_exception_int_div_zero 0
	.end_amdhsa_kernel
	.section	.text._ZL22rocblas_saxpy_2_kernelILi256EffPK16rocblas_bfloat16PS0_EviT1_lT2_llT3_lli,"axG",@progbits,_ZL22rocblas_saxpy_2_kernelILi256EffPK16rocblas_bfloat16PS0_EviT1_lT2_llT3_lli,comdat
.Lfunc_end105:
	.size	_ZL22rocblas_saxpy_2_kernelILi256EffPK16rocblas_bfloat16PS0_EviT1_lT2_llT3_lli, .Lfunc_end105-_ZL22rocblas_saxpy_2_kernelILi256EffPK16rocblas_bfloat16PS0_EviT1_lT2_llT3_lli
                                        ; -- End function
	.set _ZL22rocblas_saxpy_2_kernelILi256EffPK16rocblas_bfloat16PS0_EviT1_lT2_llT3_lli.num_vgpr, 12
	.set _ZL22rocblas_saxpy_2_kernelILi256EffPK16rocblas_bfloat16PS0_EviT1_lT2_llT3_lli.num_agpr, 0
	.set _ZL22rocblas_saxpy_2_kernelILi256EffPK16rocblas_bfloat16PS0_EviT1_lT2_llT3_lli.numbered_sgpr, 18
	.set _ZL22rocblas_saxpy_2_kernelILi256EffPK16rocblas_bfloat16PS0_EviT1_lT2_llT3_lli.num_named_barrier, 0
	.set _ZL22rocblas_saxpy_2_kernelILi256EffPK16rocblas_bfloat16PS0_EviT1_lT2_llT3_lli.private_seg_size, 0
	.set _ZL22rocblas_saxpy_2_kernelILi256EffPK16rocblas_bfloat16PS0_EviT1_lT2_llT3_lli.uses_vcc, 1
	.set _ZL22rocblas_saxpy_2_kernelILi256EffPK16rocblas_bfloat16PS0_EviT1_lT2_llT3_lli.uses_flat_scratch, 0
	.set _ZL22rocblas_saxpy_2_kernelILi256EffPK16rocblas_bfloat16PS0_EviT1_lT2_llT3_lli.has_dyn_sized_stack, 0
	.set _ZL22rocblas_saxpy_2_kernelILi256EffPK16rocblas_bfloat16PS0_EviT1_lT2_llT3_lli.has_recursion, 0
	.set _ZL22rocblas_saxpy_2_kernelILi256EffPK16rocblas_bfloat16PS0_EviT1_lT2_llT3_lli.has_indirect_call, 0
	.section	.AMDGPU.csdata,"",@progbits
; Kernel info:
; codeLenInByte = 916
; TotalNumSgprs: 22
; NumVgprs: 12
; ScratchSize: 0
; MemoryBound: 0
; FloatMode: 240
; IeeeMode: 1
; LDSByteSize: 0 bytes/workgroup (compile time only)
; SGPRBlocks: 2
; VGPRBlocks: 2
; NumSGPRsForWavesPerEU: 22
; NumVGPRsForWavesPerEU: 12
; Occupancy: 10
; WaveLimiterHint : 0
; COMPUTE_PGM_RSRC2:SCRATCH_EN: 0
; COMPUTE_PGM_RSRC2:USER_SGPR: 6
; COMPUTE_PGM_RSRC2:TRAP_HANDLER: 0
; COMPUTE_PGM_RSRC2:TGID_X_EN: 1
; COMPUTE_PGM_RSRC2:TGID_Y_EN: 0
; COMPUTE_PGM_RSRC2:TGID_Z_EN: 1
; COMPUTE_PGM_RSRC2:TIDIG_COMP_CNT: 0
	.section	.text._ZL27rocblas_axpy_kernel_batchedIiLi128ELi8EfPKfPK16rocblas_bfloat16PS2_EviT3_lT4_lT_lT5_lS8_li,"axG",@progbits,_ZL27rocblas_axpy_kernel_batchedIiLi128ELi8EfPKfPK16rocblas_bfloat16PS2_EviT3_lT4_lT_lT5_lS8_li,comdat
	.globl	_ZL27rocblas_axpy_kernel_batchedIiLi128ELi8EfPKfPK16rocblas_bfloat16PS2_EviT3_lT4_lT_lT5_lS8_li ; -- Begin function _ZL27rocblas_axpy_kernel_batchedIiLi128ELi8EfPKfPK16rocblas_bfloat16PS2_EviT3_lT4_lT_lT5_lS8_li
	.p2align	8
	.type	_ZL27rocblas_axpy_kernel_batchedIiLi128ELi8EfPKfPK16rocblas_bfloat16PS2_EviT3_lT4_lT_lT5_lS8_li,@function
_ZL27rocblas_axpy_kernel_batchedIiLi128ELi8EfPKfPK16rocblas_bfloat16PS2_EviT3_lT4_lT_lT5_lS8_li: ; @_ZL27rocblas_axpy_kernel_batchedIiLi128ELi8EfPKfPK16rocblas_bfloat16PS2_EviT3_lT4_lT_lT5_lS8_li
; %bb.0:
	s_load_dword s0, s[4:5], 0x0
	v_lshl_add_u32 v2, s6, 7, v0
	v_mov_b32_e32 v3, 0
	s_waitcnt lgkmcnt(0)
	s_ashr_i32 s1, s0, 31
	v_cmp_gt_i64_e32 vcc, s[0:1], v[2:3]
	s_and_saveexec_b64 s[0:1], vcc
	s_cbranch_execz .LBB106_45
; %bb.1:
	s_load_dword s20, s[4:5], 0x28
	s_load_dwordx8 s[8:15], s[4:5], 0x8
	s_load_dwordx4 s[0:3], s[4:5], 0x30
	s_load_dwordx2 s[18:19], s[4:5], 0x40
	s_load_dword s22, s[4:5], 0x48
	s_load_dwordx2 s[16:17], s[4:5], 0x50
	s_load_dword s6, s[4:5], 0x58
	s_waitcnt lgkmcnt(0)
	v_mad_u64_u32 v[3:4], s[4:5], s20, v2, 0
	v_mad_u64_u32 v[7:8], s[4:5], s22, v2, 0
	s_ashr_i32 s21, s20, 31
	v_mov_b32_e32 v0, v4
	v_mad_u64_u32 v[4:5], s[4:5], s21, v2, v[0:1]
	s_ashr_i32 s20, s22, 31
	v_mov_b32_e32 v0, v8
	v_mad_u64_u32 v[5:6], s[4:5], s20, v2, v[0:1]
	v_lshlrev_b32_e32 v0, 2, v1
	s_lshl_b64 s[4:5], s[14:15], 1
	v_lshl_add_u32 v6, s7, 5, v0
	s_add_u32 s4, s12, s4
	v_lshlrev_b64 v[0:1], 1, v[3:4]
	s_addc_u32 s5, s13, s5
	v_mov_b32_e32 v8, v5
	v_mov_b32_e32 v2, s5
	v_add_co_u32_e32 v4, vcc, s4, v0
	s_lshl_b64 s[4:5], s[18:19], 1
	v_addc_co_u32_e32 v5, vcc, v2, v1, vcc
	s_add_u32 s2, s2, s4
	v_lshlrev_b64 v[0:1], 1, v[7:8]
	s_addc_u32 s3, s3, s5
	v_mov_b32_e32 v3, s3
	v_add_co_u32_e32 v2, vcc, s2, v0
	v_addc_co_u32_e32 v3, vcc, v3, v1, vcc
	v_cmp_gt_u32_e32 vcc, s6, v6
	s_and_saveexec_b64 s[2:3], vcc
	s_cbranch_execz .LBB106_12
; %bb.2:
	v_mad_u64_u32 v[0:1], s[4:5], s10, v6, 0
	v_mad_u64_u32 v[7:8], s[4:5], s11, v6, v[1:2]
	v_mov_b32_e32 v8, s9
	v_mov_b32_e32 v1, v7
	v_lshlrev_b64 v[0:1], 2, v[0:1]
	v_add_co_u32_e32 v0, vcc, s8, v0
	v_addc_co_u32_e32 v1, vcc, v8, v1, vcc
	global_load_dword v8, v[0:1], off
	s_waitcnt vmcnt(0)
	v_cmp_neq_f32_e32 vcc, 0, v8
	s_and_b64 exec, exec, vcc
	s_cbranch_execz .LBB106_12
; %bb.3:
	v_mad_u64_u32 v[0:1], s[4:5], s0, v6, 0
	v_mad_u64_u32 v[9:10], s[4:5], s16, v6, 0
	;; [unrolled: 1-line block ×3, first 2 shown]
	v_mov_b32_e32 v7, v10
	v_mov_b32_e32 v1, v11
	v_lshlrev_b64 v[0:1], 1, v[0:1]
	v_mad_u64_u32 v[10:11], s[4:5], s17, v6, v[7:8]
	v_add_co_u32_e32 v0, vcc, v4, v0
	v_addc_co_u32_e32 v1, vcc, v5, v1, vcc
	v_lshlrev_b64 v[9:10], 1, v[9:10]
	global_load_ushort v11, v[0:1], off
	v_add_co_u32_e32 v0, vcc, v2, v9
	v_addc_co_u32_e32 v1, vcc, v3, v10, vcc
	global_load_ushort v7, v[0:1], off
	s_mov_b32 s4, 0x7f800000
	s_waitcnt vmcnt(1)
	v_lshlrev_b32_e32 v9, 16, v11
	v_mul_f32_e32 v8, v8, v9
	v_and_b32_e32 v9, 0x7f800000, v8
	v_cmp_ne_u32_e32 vcc, s4, v9
                                        ; implicit-def: $vgpr9
	s_and_saveexec_b64 s[4:5], vcc
	s_xor_b64 s[4:5], exec, s[4:5]
; %bb.4:
	v_bfe_u32 v9, v8, 16, 1
	s_movk_i32 s7, 0x7fff
	v_add3_u32 v9, v8, v9, s7
                                        ; implicit-def: $vgpr8
; %bb.5:
	s_andn2_saveexec_b64 s[4:5], s[4:5]
; %bb.6:
	v_mov_b32_e32 v9, 0
	v_or_b32_e32 v10, 0x10000, v8
	v_cmp_eq_u32_sdwa vcc, v8, v9 src0_sel:WORD_0 src1_sel:DWORD
	v_cndmask_b32_e32 v9, v10, v8, vcc
; %bb.7:
	s_or_b64 exec, exec, s[4:5]
	v_and_b32_e32 v8, 0xffff0000, v9
	s_waitcnt vmcnt(0)
	v_lshlrev_b32_e32 v7, 16, v7
	v_add_f32_e32 v7, v7, v8
	s_mov_b32 s4, 0x7f800000
	v_and_b32_e32 v8, 0x7f800000, v7
	v_cmp_ne_u32_e32 vcc, s4, v8
                                        ; implicit-def: $vgpr8
	s_and_saveexec_b64 s[4:5], vcc
	s_xor_b64 s[4:5], exec, s[4:5]
; %bb.8:
	v_bfe_u32 v8, v7, 16, 1
	s_movk_i32 s7, 0x7fff
	v_add3_u32 v8, v7, v8, s7
                                        ; implicit-def: $vgpr7
; %bb.9:
	s_andn2_saveexec_b64 s[4:5], s[4:5]
; %bb.10:
	v_mov_b32_e32 v8, 0
	v_or_b32_e32 v9, 0x10000, v7
	v_cmp_eq_u32_sdwa vcc, v7, v8 src0_sel:WORD_0 src1_sel:DWORD
	v_cndmask_b32_e32 v8, v9, v7, vcc
; %bb.11:
	s_or_b64 exec, exec, s[4:5]
	global_store_short_d16_hi v[0:1], v8, off
.LBB106_12:
	s_or_b64 exec, exec, s[2:3]
	v_or_b32_e32 v0, 1, v6
	v_cmp_gt_u32_e32 vcc, s6, v0
	s_and_saveexec_b64 s[2:3], vcc
	s_cbranch_execz .LBB106_23
; %bb.13:
	v_mad_u64_u32 v[7:8], s[4:5], s10, v0, 0
	v_mov_b32_e32 v1, v8
	v_mad_u64_u32 v[8:9], s[4:5], s11, v0, v[1:2]
	v_mov_b32_e32 v1, s9
	v_lshlrev_b64 v[7:8], 2, v[7:8]
	v_add_co_u32_e32 v7, vcc, s8, v7
	v_addc_co_u32_e32 v8, vcc, v1, v8, vcc
	global_load_dword v8, v[7:8], off
	s_waitcnt vmcnt(0)
	v_cmp_neq_f32_e32 vcc, 0, v8
	s_and_b64 exec, exec, vcc
	s_cbranch_execz .LBB106_23
; %bb.14:
	v_mad_u64_u32 v[9:10], s[4:5], s0, v0, 0
	v_mad_u64_u32 v[11:12], s[4:5], s16, v0, 0
	v_mov_b32_e32 v1, v10
	v_mad_u64_u32 v[13:14], s[4:5], s1, v0, v[1:2]
	v_mov_b32_e32 v1, v12
	;; [unrolled: 2-line block ×3, first 2 shown]
	v_lshlrev_b64 v[9:10], 1, v[9:10]
	v_mov_b32_e32 v12, v0
	v_add_co_u32_e32 v9, vcc, v4, v9
	v_addc_co_u32_e32 v10, vcc, v5, v10, vcc
	v_lshlrev_b64 v[0:1], 1, v[11:12]
	global_load_ushort v9, v[9:10], off
	v_add_co_u32_e32 v0, vcc, v2, v0
	v_addc_co_u32_e32 v1, vcc, v3, v1, vcc
	global_load_ushort v7, v[0:1], off
	s_mov_b32 s4, 0x7f800000
	s_waitcnt vmcnt(1)
	v_lshlrev_b32_e32 v9, 16, v9
	v_mul_f32_e32 v8, v8, v9
	v_and_b32_e32 v9, 0x7f800000, v8
	v_cmp_ne_u32_e32 vcc, s4, v9
                                        ; implicit-def: $vgpr9
	s_and_saveexec_b64 s[4:5], vcc
	s_xor_b64 s[4:5], exec, s[4:5]
; %bb.15:
	v_bfe_u32 v9, v8, 16, 1
	s_movk_i32 s7, 0x7fff
	v_add3_u32 v9, v8, v9, s7
                                        ; implicit-def: $vgpr8
; %bb.16:
	s_andn2_saveexec_b64 s[4:5], s[4:5]
; %bb.17:
	v_mov_b32_e32 v9, 0
	v_or_b32_e32 v10, 0x10000, v8
	v_cmp_eq_u32_sdwa vcc, v8, v9 src0_sel:WORD_0 src1_sel:DWORD
	v_cndmask_b32_e32 v9, v10, v8, vcc
; %bb.18:
	s_or_b64 exec, exec, s[4:5]
	v_and_b32_e32 v8, 0xffff0000, v9
	s_waitcnt vmcnt(0)
	v_lshlrev_b32_e32 v7, 16, v7
	v_add_f32_e32 v7, v7, v8
	s_mov_b32 s4, 0x7f800000
	v_and_b32_e32 v8, 0x7f800000, v7
	v_cmp_ne_u32_e32 vcc, s4, v8
                                        ; implicit-def: $vgpr8
	s_and_saveexec_b64 s[4:5], vcc
	s_xor_b64 s[4:5], exec, s[4:5]
; %bb.19:
	v_bfe_u32 v8, v7, 16, 1
	s_movk_i32 s7, 0x7fff
	v_add3_u32 v8, v7, v8, s7
                                        ; implicit-def: $vgpr7
; %bb.20:
	s_andn2_saveexec_b64 s[4:5], s[4:5]
; %bb.21:
	v_mov_b32_e32 v8, 0
	v_or_b32_e32 v9, 0x10000, v7
	v_cmp_eq_u32_sdwa vcc, v7, v8 src0_sel:WORD_0 src1_sel:DWORD
	v_cndmask_b32_e32 v8, v9, v7, vcc
; %bb.22:
	s_or_b64 exec, exec, s[4:5]
	global_store_short_d16_hi v[0:1], v8, off
.LBB106_23:
	s_or_b64 exec, exec, s[2:3]
	v_or_b32_e32 v0, 2, v6
	v_cmp_gt_u32_e32 vcc, s6, v0
	s_and_saveexec_b64 s[2:3], vcc
	s_cbranch_execz .LBB106_34
; %bb.24:
	v_mad_u64_u32 v[7:8], s[4:5], s10, v0, 0
	v_mov_b32_e32 v1, v8
	v_mad_u64_u32 v[8:9], s[4:5], s11, v0, v[1:2]
	v_mov_b32_e32 v1, s9
	v_lshlrev_b64 v[7:8], 2, v[7:8]
	v_add_co_u32_e32 v7, vcc, s8, v7
	v_addc_co_u32_e32 v8, vcc, v1, v8, vcc
	global_load_dword v8, v[7:8], off
	s_waitcnt vmcnt(0)
	v_cmp_neq_f32_e32 vcc, 0, v8
	s_and_b64 exec, exec, vcc
	s_cbranch_execz .LBB106_34
; %bb.25:
	v_mad_u64_u32 v[9:10], s[4:5], s0, v0, 0
	v_mad_u64_u32 v[11:12], s[4:5], s16, v0, 0
	v_mov_b32_e32 v1, v10
	v_mad_u64_u32 v[13:14], s[4:5], s1, v0, v[1:2]
	v_mov_b32_e32 v1, v12
	;; [unrolled: 2-line block ×3, first 2 shown]
	v_lshlrev_b64 v[9:10], 1, v[9:10]
	v_mov_b32_e32 v12, v0
	v_add_co_u32_e32 v9, vcc, v4, v9
	v_addc_co_u32_e32 v10, vcc, v5, v10, vcc
	v_lshlrev_b64 v[0:1], 1, v[11:12]
	global_load_ushort v9, v[9:10], off
	v_add_co_u32_e32 v0, vcc, v2, v0
	v_addc_co_u32_e32 v1, vcc, v3, v1, vcc
	global_load_ushort v7, v[0:1], off
	s_mov_b32 s4, 0x7f800000
	s_waitcnt vmcnt(1)
	v_lshlrev_b32_e32 v9, 16, v9
	v_mul_f32_e32 v8, v8, v9
	v_and_b32_e32 v9, 0x7f800000, v8
	v_cmp_ne_u32_e32 vcc, s4, v9
                                        ; implicit-def: $vgpr9
	s_and_saveexec_b64 s[4:5], vcc
	s_xor_b64 s[4:5], exec, s[4:5]
; %bb.26:
	v_bfe_u32 v9, v8, 16, 1
	s_movk_i32 s7, 0x7fff
	v_add3_u32 v9, v8, v9, s7
                                        ; implicit-def: $vgpr8
; %bb.27:
	s_andn2_saveexec_b64 s[4:5], s[4:5]
; %bb.28:
	v_mov_b32_e32 v9, 0
	v_or_b32_e32 v10, 0x10000, v8
	v_cmp_eq_u32_sdwa vcc, v8, v9 src0_sel:WORD_0 src1_sel:DWORD
	v_cndmask_b32_e32 v9, v10, v8, vcc
; %bb.29:
	s_or_b64 exec, exec, s[4:5]
	v_and_b32_e32 v8, 0xffff0000, v9
	s_waitcnt vmcnt(0)
	v_lshlrev_b32_e32 v7, 16, v7
	v_add_f32_e32 v7, v7, v8
	s_mov_b32 s4, 0x7f800000
	v_and_b32_e32 v8, 0x7f800000, v7
	v_cmp_ne_u32_e32 vcc, s4, v8
                                        ; implicit-def: $vgpr8
	s_and_saveexec_b64 s[4:5], vcc
	s_xor_b64 s[4:5], exec, s[4:5]
; %bb.30:
	v_bfe_u32 v8, v7, 16, 1
	s_movk_i32 s7, 0x7fff
	v_add3_u32 v8, v7, v8, s7
                                        ; implicit-def: $vgpr7
; %bb.31:
	s_andn2_saveexec_b64 s[4:5], s[4:5]
; %bb.32:
	v_mov_b32_e32 v8, 0
	v_or_b32_e32 v9, 0x10000, v7
	v_cmp_eq_u32_sdwa vcc, v7, v8 src0_sel:WORD_0 src1_sel:DWORD
	v_cndmask_b32_e32 v8, v9, v7, vcc
; %bb.33:
	s_or_b64 exec, exec, s[4:5]
	global_store_short_d16_hi v[0:1], v8, off
.LBB106_34:
	s_or_b64 exec, exec, s[2:3]
	v_or_b32_e32 v0, 3, v6
	v_cmp_gt_u32_e32 vcc, s6, v0
	s_and_b64 exec, exec, vcc
	s_cbranch_execz .LBB106_45
; %bb.35:
	v_mad_u64_u32 v[6:7], s[2:3], s10, v0, 0
	v_mov_b32_e32 v1, v7
	v_mad_u64_u32 v[7:8], s[2:3], s11, v0, v[1:2]
	v_mov_b32_e32 v1, s9
	v_lshlrev_b64 v[6:7], 2, v[6:7]
	v_add_co_u32_e32 v6, vcc, s8, v6
	v_addc_co_u32_e32 v7, vcc, v1, v7, vcc
	global_load_dword v6, v[6:7], off
	s_waitcnt vmcnt(0)
	v_cmp_neq_f32_e32 vcc, 0, v6
	s_and_b64 exec, exec, vcc
	s_cbranch_execz .LBB106_45
; %bb.36:
	v_mad_u64_u32 v[7:8], s[2:3], s0, v0, 0
	v_mad_u64_u32 v[9:10], s[2:3], s16, v0, 0
	v_mov_b32_e32 v1, v8
	v_mad_u64_u32 v[11:12], s[0:1], s1, v0, v[1:2]
	v_mov_b32_e32 v1, v10
	;; [unrolled: 2-line block ×3, first 2 shown]
	v_lshlrev_b64 v[7:8], 1, v[7:8]
	v_mov_b32_e32 v10, v0
	v_add_co_u32_e32 v4, vcc, v4, v7
	v_addc_co_u32_e32 v5, vcc, v5, v8, vcc
	v_lshlrev_b64 v[0:1], 1, v[9:10]
	global_load_ushort v4, v[4:5], off
	v_add_co_u32_e32 v0, vcc, v2, v0
	v_addc_co_u32_e32 v1, vcc, v3, v1, vcc
	global_load_ushort v2, v[0:1], off
	s_mov_b32 s0, 0x7f800000
	s_waitcnt vmcnt(1)
	v_lshlrev_b32_e32 v3, 16, v4
	v_mul_f32_e32 v3, v6, v3
	v_and_b32_e32 v4, 0x7f800000, v3
	v_cmp_ne_u32_e32 vcc, s0, v4
                                        ; implicit-def: $vgpr4
	s_and_saveexec_b64 s[0:1], vcc
	s_xor_b64 s[0:1], exec, s[0:1]
; %bb.37:
	v_bfe_u32 v4, v3, 16, 1
	s_movk_i32 s2, 0x7fff
	v_add3_u32 v4, v3, v4, s2
                                        ; implicit-def: $vgpr3
; %bb.38:
	s_andn2_saveexec_b64 s[0:1], s[0:1]
; %bb.39:
	v_mov_b32_e32 v4, 0
	v_or_b32_e32 v5, 0x10000, v3
	v_cmp_eq_u32_sdwa vcc, v3, v4 src0_sel:WORD_0 src1_sel:DWORD
	v_cndmask_b32_e32 v4, v5, v3, vcc
; %bb.40:
	s_or_b64 exec, exec, s[0:1]
	v_and_b32_e32 v3, 0xffff0000, v4
	s_waitcnt vmcnt(0)
	v_lshlrev_b32_e32 v2, 16, v2
	v_add_f32_e32 v2, v2, v3
	s_mov_b32 s0, 0x7f800000
	v_and_b32_e32 v3, 0x7f800000, v2
	v_cmp_ne_u32_e32 vcc, s0, v3
                                        ; implicit-def: $vgpr3
	s_and_saveexec_b64 s[0:1], vcc
	s_xor_b64 s[0:1], exec, s[0:1]
; %bb.41:
	v_bfe_u32 v3, v2, 16, 1
	s_movk_i32 s2, 0x7fff
	v_add3_u32 v3, v2, v3, s2
                                        ; implicit-def: $vgpr2
; %bb.42:
	s_andn2_saveexec_b64 s[0:1], s[0:1]
; %bb.43:
	v_mov_b32_e32 v3, 0
	v_or_b32_e32 v4, 0x10000, v2
	v_cmp_eq_u32_sdwa vcc, v2, v3 src0_sel:WORD_0 src1_sel:DWORD
	v_cndmask_b32_e32 v3, v4, v2, vcc
; %bb.44:
	s_or_b64 exec, exec, s[0:1]
	global_store_short_d16_hi v[0:1], v3, off
.LBB106_45:
	s_endpgm
	.section	.rodata,"a",@progbits
	.p2align	6, 0x0
	.amdhsa_kernel _ZL27rocblas_axpy_kernel_batchedIiLi128ELi8EfPKfPK16rocblas_bfloat16PS2_EviT3_lT4_lT_lT5_lS8_li
		.amdhsa_group_segment_fixed_size 0
		.amdhsa_private_segment_fixed_size 0
		.amdhsa_kernarg_size 92
		.amdhsa_user_sgpr_count 6
		.amdhsa_user_sgpr_private_segment_buffer 1
		.amdhsa_user_sgpr_dispatch_ptr 0
		.amdhsa_user_sgpr_queue_ptr 0
		.amdhsa_user_sgpr_kernarg_segment_ptr 1
		.amdhsa_user_sgpr_dispatch_id 0
		.amdhsa_user_sgpr_flat_scratch_init 0
		.amdhsa_user_sgpr_private_segment_size 0
		.amdhsa_uses_dynamic_stack 0
		.amdhsa_system_sgpr_private_segment_wavefront_offset 0
		.amdhsa_system_sgpr_workgroup_id_x 1
		.amdhsa_system_sgpr_workgroup_id_y 0
		.amdhsa_system_sgpr_workgroup_id_z 1
		.amdhsa_system_sgpr_workgroup_info 0
		.amdhsa_system_vgpr_workitem_id 1
		.amdhsa_next_free_vgpr 15
		.amdhsa_next_free_sgpr 23
		.amdhsa_reserve_vcc 1
		.amdhsa_reserve_flat_scratch 0
		.amdhsa_float_round_mode_32 0
		.amdhsa_float_round_mode_16_64 0
		.amdhsa_float_denorm_mode_32 3
		.amdhsa_float_denorm_mode_16_64 3
		.amdhsa_dx10_clamp 1
		.amdhsa_ieee_mode 1
		.amdhsa_fp16_overflow 0
		.amdhsa_exception_fp_ieee_invalid_op 0
		.amdhsa_exception_fp_denorm_src 0
		.amdhsa_exception_fp_ieee_div_zero 0
		.amdhsa_exception_fp_ieee_overflow 0
		.amdhsa_exception_fp_ieee_underflow 0
		.amdhsa_exception_fp_ieee_inexact 0
		.amdhsa_exception_int_div_zero 0
	.end_amdhsa_kernel
	.section	.text._ZL27rocblas_axpy_kernel_batchedIiLi128ELi8EfPKfPK16rocblas_bfloat16PS2_EviT3_lT4_lT_lT5_lS8_li,"axG",@progbits,_ZL27rocblas_axpy_kernel_batchedIiLi128ELi8EfPKfPK16rocblas_bfloat16PS2_EviT3_lT4_lT_lT5_lS8_li,comdat
.Lfunc_end106:
	.size	_ZL27rocblas_axpy_kernel_batchedIiLi128ELi8EfPKfPK16rocblas_bfloat16PS2_EviT3_lT4_lT_lT5_lS8_li, .Lfunc_end106-_ZL27rocblas_axpy_kernel_batchedIiLi128ELi8EfPKfPK16rocblas_bfloat16PS2_EviT3_lT4_lT_lT5_lS8_li
                                        ; -- End function
	.set _ZL27rocblas_axpy_kernel_batchedIiLi128ELi8EfPKfPK16rocblas_bfloat16PS2_EviT3_lT4_lT_lT5_lS8_li.num_vgpr, 15
	.set _ZL27rocblas_axpy_kernel_batchedIiLi128ELi8EfPKfPK16rocblas_bfloat16PS2_EviT3_lT4_lT_lT5_lS8_li.num_agpr, 0
	.set _ZL27rocblas_axpy_kernel_batchedIiLi128ELi8EfPKfPK16rocblas_bfloat16PS2_EviT3_lT4_lT_lT5_lS8_li.numbered_sgpr, 23
	.set _ZL27rocblas_axpy_kernel_batchedIiLi128ELi8EfPKfPK16rocblas_bfloat16PS2_EviT3_lT4_lT_lT5_lS8_li.num_named_barrier, 0
	.set _ZL27rocblas_axpy_kernel_batchedIiLi128ELi8EfPKfPK16rocblas_bfloat16PS2_EviT3_lT4_lT_lT5_lS8_li.private_seg_size, 0
	.set _ZL27rocblas_axpy_kernel_batchedIiLi128ELi8EfPKfPK16rocblas_bfloat16PS2_EviT3_lT4_lT_lT5_lS8_li.uses_vcc, 1
	.set _ZL27rocblas_axpy_kernel_batchedIiLi128ELi8EfPKfPK16rocblas_bfloat16PS2_EviT3_lT4_lT_lT5_lS8_li.uses_flat_scratch, 0
	.set _ZL27rocblas_axpy_kernel_batchedIiLi128ELi8EfPKfPK16rocblas_bfloat16PS2_EviT3_lT4_lT_lT5_lS8_li.has_dyn_sized_stack, 0
	.set _ZL27rocblas_axpy_kernel_batchedIiLi128ELi8EfPKfPK16rocblas_bfloat16PS2_EviT3_lT4_lT_lT5_lS8_li.has_recursion, 0
	.set _ZL27rocblas_axpy_kernel_batchedIiLi128ELi8EfPKfPK16rocblas_bfloat16PS2_EviT3_lT4_lT_lT5_lS8_li.has_indirect_call, 0
	.section	.AMDGPU.csdata,"",@progbits
; Kernel info:
; codeLenInByte = 1736
; TotalNumSgprs: 27
; NumVgprs: 15
; ScratchSize: 0
; MemoryBound: 0
; FloatMode: 240
; IeeeMode: 1
; LDSByteSize: 0 bytes/workgroup (compile time only)
; SGPRBlocks: 3
; VGPRBlocks: 3
; NumSGPRsForWavesPerEU: 27
; NumVGPRsForWavesPerEU: 15
; Occupancy: 10
; WaveLimiterHint : 0
; COMPUTE_PGM_RSRC2:SCRATCH_EN: 0
; COMPUTE_PGM_RSRC2:USER_SGPR: 6
; COMPUTE_PGM_RSRC2:TRAP_HANDLER: 0
; COMPUTE_PGM_RSRC2:TGID_X_EN: 1
; COMPUTE_PGM_RSRC2:TGID_Y_EN: 0
; COMPUTE_PGM_RSRC2:TGID_Z_EN: 1
; COMPUTE_PGM_RSRC2:TIDIG_COMP_CNT: 1
	.section	.text._ZL27rocblas_axpy_kernel_batchedIiLi128ELi8EffPK16rocblas_bfloat16PS0_EviT3_lT4_lT_lT5_lS6_li,"axG",@progbits,_ZL27rocblas_axpy_kernel_batchedIiLi128ELi8EffPK16rocblas_bfloat16PS0_EviT3_lT4_lT_lT5_lS6_li,comdat
	.globl	_ZL27rocblas_axpy_kernel_batchedIiLi128ELi8EffPK16rocblas_bfloat16PS0_EviT3_lT4_lT_lT5_lS6_li ; -- Begin function _ZL27rocblas_axpy_kernel_batchedIiLi128ELi8EffPK16rocblas_bfloat16PS0_EviT3_lT4_lT_lT5_lS6_li
	.p2align	8
	.type	_ZL27rocblas_axpy_kernel_batchedIiLi128ELi8EffPK16rocblas_bfloat16PS0_EviT3_lT4_lT_lT5_lS6_li,@function
_ZL27rocblas_axpy_kernel_batchedIiLi128ELi8EffPK16rocblas_bfloat16PS0_EviT3_lT4_lT_lT5_lS6_li: ; @_ZL27rocblas_axpy_kernel_batchedIiLi128ELi8EffPK16rocblas_bfloat16PS0_EviT3_lT4_lT_lT5_lS6_li
; %bb.0:
	s_load_dwordx2 s[8:9], s[4:5], 0x0
	v_lshl_add_u32 v2, s6, 7, v0
	v_mov_b32_e32 v3, 0
	s_waitcnt lgkmcnt(0)
	s_ashr_i32 s1, s8, 31
	s_mov_b32 s0, s8
	v_cmp_gt_i64_e32 vcc, s[0:1], v[2:3]
	s_and_saveexec_b64 s[0:1], vcc
	s_cbranch_execz .LBB107_41
; %bb.1:
	s_load_dword s6, s[4:5], 0x20
	s_load_dwordx4 s[12:15], s[4:5], 0x10
	s_load_dwordx4 s[0:3], s[4:5], 0x28
	s_load_dwordx2 s[16:17], s[4:5], 0x38
	s_load_dword s19, s[4:5], 0x40
	s_load_dwordx2 s[10:11], s[4:5], 0x48
	s_load_dword s8, s[4:5], 0x50
	s_waitcnt lgkmcnt(0)
	v_mad_u64_u32 v[3:4], s[4:5], s6, v2, 0
	v_mad_u64_u32 v[7:8], s[4:5], s19, v2, 0
	s_ashr_i32 s18, s6, 31
	v_mov_b32_e32 v0, v4
	v_mad_u64_u32 v[4:5], s[4:5], s18, v2, v[0:1]
	s_ashr_i32 s6, s19, 31
	v_mov_b32_e32 v0, v8
	v_mad_u64_u32 v[5:6], s[4:5], s6, v2, v[0:1]
	v_lshlrev_b32_e32 v0, 2, v1
	v_lshl_add_u32 v6, s7, 5, v0
	s_lshl_b64 s[6:7], s[14:15], 1
	s_add_u32 s6, s12, s6
	v_lshlrev_b64 v[0:1], 1, v[3:4]
	s_addc_u32 s7, s13, s7
	v_mov_b32_e32 v8, v5
	v_mov_b32_e32 v2, s7
	v_add_co_u32_e32 v4, vcc, s6, v0
	s_lshl_b64 s[6:7], s[16:17], 1
	v_addc_co_u32_e32 v5, vcc, v2, v1, vcc
	s_add_u32 s2, s2, s6
	v_lshlrev_b64 v[0:1], 1, v[7:8]
	s_addc_u32 s3, s3, s7
	v_mov_b32_e32 v3, s3
	v_add_co_u32_e32 v2, vcc, s2, v0
	v_addc_co_u32_e32 v3, vcc, v3, v1, vcc
	v_cmp_neq_f32_e64 s[4:5], s9, 0
	v_cmp_gt_u32_e32 vcc, s8, v6
	s_and_b64 s[6:7], s[4:5], vcc
	s_and_saveexec_b64 s[2:3], s[6:7]
	s_cbranch_execz .LBB107_11
; %bb.2:
	v_mad_u64_u32 v[0:1], s[6:7], s0, v6, 0
	v_mad_u64_u32 v[7:8], s[6:7], s10, v6, 0
	;; [unrolled: 1-line block ×3, first 2 shown]
	v_mov_b32_e32 v1, v9
	v_lshlrev_b64 v[0:1], 1, v[0:1]
	v_mad_u64_u32 v[8:9], s[6:7], s11, v6, v[8:9]
	v_add_co_u32_e32 v0, vcc, v4, v0
	v_addc_co_u32_e32 v1, vcc, v5, v1, vcc
	v_lshlrev_b64 v[7:8], 1, v[7:8]
	global_load_ushort v9, v[0:1], off
	v_add_co_u32_e32 v0, vcc, v2, v7
	v_addc_co_u32_e32 v1, vcc, v3, v8, vcc
	global_load_ushort v7, v[0:1], off
	s_mov_b32 s6, 0x7f800000
	s_waitcnt vmcnt(1)
	v_lshlrev_b32_e32 v8, 16, v9
	v_mul_f32_e32 v8, s9, v8
	v_and_b32_e32 v9, 0x7f800000, v8
	v_cmp_ne_u32_e32 vcc, s6, v9
                                        ; implicit-def: $vgpr9
	s_and_saveexec_b64 s[6:7], vcc
	s_xor_b64 s[6:7], exec, s[6:7]
; %bb.3:
	v_bfe_u32 v9, v8, 16, 1
	s_movk_i32 s12, 0x7fff
	v_add3_u32 v9, v8, v9, s12
                                        ; implicit-def: $vgpr8
; %bb.4:
	s_andn2_saveexec_b64 s[6:7], s[6:7]
; %bb.5:
	v_mov_b32_e32 v9, 0
	v_or_b32_e32 v10, 0x10000, v8
	v_cmp_eq_u32_sdwa vcc, v8, v9 src0_sel:WORD_0 src1_sel:DWORD
	v_cndmask_b32_e32 v9, v10, v8, vcc
; %bb.6:
	s_or_b64 exec, exec, s[6:7]
	v_and_b32_e32 v8, 0xffff0000, v9
	s_waitcnt vmcnt(0)
	v_lshlrev_b32_e32 v7, 16, v7
	v_add_f32_e32 v7, v7, v8
	s_mov_b32 s6, 0x7f800000
	v_and_b32_e32 v8, 0x7f800000, v7
	v_cmp_ne_u32_e32 vcc, s6, v8
                                        ; implicit-def: $vgpr8
	s_and_saveexec_b64 s[6:7], vcc
	s_xor_b64 s[6:7], exec, s[6:7]
; %bb.7:
	v_bfe_u32 v8, v7, 16, 1
	s_movk_i32 s12, 0x7fff
	v_add3_u32 v8, v7, v8, s12
                                        ; implicit-def: $vgpr7
; %bb.8:
	s_andn2_saveexec_b64 s[6:7], s[6:7]
; %bb.9:
	v_mov_b32_e32 v8, 0
	v_or_b32_e32 v9, 0x10000, v7
	v_cmp_eq_u32_sdwa vcc, v7, v8 src0_sel:WORD_0 src1_sel:DWORD
	v_cndmask_b32_e32 v8, v9, v7, vcc
; %bb.10:
	s_or_b64 exec, exec, s[6:7]
	global_store_short_d16_hi v[0:1], v8, off
.LBB107_11:
	s_or_b64 exec, exec, s[2:3]
	v_or_b32_e32 v0, 1, v6
	v_cmp_gt_u32_e32 vcc, s8, v0
	s_and_b64 s[6:7], s[4:5], vcc
	s_and_saveexec_b64 s[2:3], s[6:7]
	s_cbranch_execz .LBB107_21
; %bb.12:
	v_mad_u64_u32 v[7:8], s[6:7], s0, v0, 0
	v_mad_u64_u32 v[9:10], s[6:7], s10, v0, 0
	v_mov_b32_e32 v1, v8
	v_mad_u64_u32 v[11:12], s[6:7], s1, v0, v[1:2]
	v_mov_b32_e32 v1, v10
	v_mad_u64_u32 v[0:1], s[6:7], s11, v0, v[1:2]
	v_mov_b32_e32 v8, v11
	v_lshlrev_b64 v[7:8], 1, v[7:8]
	v_mov_b32_e32 v10, v0
	v_add_co_u32_e32 v7, vcc, v4, v7
	v_addc_co_u32_e32 v8, vcc, v5, v8, vcc
	v_lshlrev_b64 v[0:1], 1, v[9:10]
	global_load_ushort v8, v[7:8], off
	v_add_co_u32_e32 v0, vcc, v2, v0
	v_addc_co_u32_e32 v1, vcc, v3, v1, vcc
	global_load_ushort v7, v[0:1], off
	s_mov_b32 s6, 0x7f800000
	s_waitcnt vmcnt(1)
	v_lshlrev_b32_e32 v8, 16, v8
	v_mul_f32_e32 v8, s9, v8
	v_and_b32_e32 v9, 0x7f800000, v8
	v_cmp_ne_u32_e32 vcc, s6, v9
                                        ; implicit-def: $vgpr9
	s_and_saveexec_b64 s[6:7], vcc
	s_xor_b64 s[6:7], exec, s[6:7]
; %bb.13:
	v_bfe_u32 v9, v8, 16, 1
	s_movk_i32 s12, 0x7fff
	v_add3_u32 v9, v8, v9, s12
                                        ; implicit-def: $vgpr8
; %bb.14:
	s_andn2_saveexec_b64 s[6:7], s[6:7]
; %bb.15:
	v_mov_b32_e32 v9, 0
	v_or_b32_e32 v10, 0x10000, v8
	v_cmp_eq_u32_sdwa vcc, v8, v9 src0_sel:WORD_0 src1_sel:DWORD
	v_cndmask_b32_e32 v9, v10, v8, vcc
; %bb.16:
	s_or_b64 exec, exec, s[6:7]
	v_and_b32_e32 v8, 0xffff0000, v9
	s_waitcnt vmcnt(0)
	v_lshlrev_b32_e32 v7, 16, v7
	v_add_f32_e32 v7, v7, v8
	s_mov_b32 s6, 0x7f800000
	v_and_b32_e32 v8, 0x7f800000, v7
	v_cmp_ne_u32_e32 vcc, s6, v8
                                        ; implicit-def: $vgpr8
	s_and_saveexec_b64 s[6:7], vcc
	s_xor_b64 s[6:7], exec, s[6:7]
; %bb.17:
	v_bfe_u32 v8, v7, 16, 1
	s_movk_i32 s12, 0x7fff
	v_add3_u32 v8, v7, v8, s12
                                        ; implicit-def: $vgpr7
; %bb.18:
	s_andn2_saveexec_b64 s[6:7], s[6:7]
; %bb.19:
	v_mov_b32_e32 v8, 0
	v_or_b32_e32 v9, 0x10000, v7
	v_cmp_eq_u32_sdwa vcc, v7, v8 src0_sel:WORD_0 src1_sel:DWORD
	v_cndmask_b32_e32 v8, v9, v7, vcc
; %bb.20:
	s_or_b64 exec, exec, s[6:7]
	global_store_short_d16_hi v[0:1], v8, off
.LBB107_21:
	s_or_b64 exec, exec, s[2:3]
	v_or_b32_e32 v0, 2, v6
	v_cmp_gt_u32_e32 vcc, s8, v0
	s_and_b64 s[6:7], s[4:5], vcc
	s_and_saveexec_b64 s[2:3], s[6:7]
	s_cbranch_execz .LBB107_31
; %bb.22:
	v_mad_u64_u32 v[7:8], s[6:7], s0, v0, 0
	v_mad_u64_u32 v[9:10], s[6:7], s10, v0, 0
	v_mov_b32_e32 v1, v8
	v_mad_u64_u32 v[11:12], s[6:7], s1, v0, v[1:2]
	v_mov_b32_e32 v1, v10
	;; [unrolled: 2-line block ×3, first 2 shown]
	v_lshlrev_b64 v[7:8], 1, v[7:8]
	v_mov_b32_e32 v10, v0
	v_add_co_u32_e32 v7, vcc, v4, v7
	v_addc_co_u32_e32 v8, vcc, v5, v8, vcc
	v_lshlrev_b64 v[0:1], 1, v[9:10]
	global_load_ushort v8, v[7:8], off
	v_add_co_u32_e32 v0, vcc, v2, v0
	v_addc_co_u32_e32 v1, vcc, v3, v1, vcc
	global_load_ushort v7, v[0:1], off
	s_mov_b32 s6, 0x7f800000
	s_waitcnt vmcnt(1)
	v_lshlrev_b32_e32 v8, 16, v8
	v_mul_f32_e32 v8, s9, v8
	v_and_b32_e32 v9, 0x7f800000, v8
	v_cmp_ne_u32_e32 vcc, s6, v9
                                        ; implicit-def: $vgpr9
	s_and_saveexec_b64 s[6:7], vcc
	s_xor_b64 s[6:7], exec, s[6:7]
; %bb.23:
	v_bfe_u32 v9, v8, 16, 1
	s_movk_i32 s12, 0x7fff
	v_add3_u32 v9, v8, v9, s12
                                        ; implicit-def: $vgpr8
; %bb.24:
	s_andn2_saveexec_b64 s[6:7], s[6:7]
; %bb.25:
	v_mov_b32_e32 v9, 0
	v_or_b32_e32 v10, 0x10000, v8
	v_cmp_eq_u32_sdwa vcc, v8, v9 src0_sel:WORD_0 src1_sel:DWORD
	v_cndmask_b32_e32 v9, v10, v8, vcc
; %bb.26:
	s_or_b64 exec, exec, s[6:7]
	v_and_b32_e32 v8, 0xffff0000, v9
	s_waitcnt vmcnt(0)
	v_lshlrev_b32_e32 v7, 16, v7
	v_add_f32_e32 v7, v7, v8
	s_mov_b32 s6, 0x7f800000
	v_and_b32_e32 v8, 0x7f800000, v7
	v_cmp_ne_u32_e32 vcc, s6, v8
                                        ; implicit-def: $vgpr8
	s_and_saveexec_b64 s[6:7], vcc
	s_xor_b64 s[6:7], exec, s[6:7]
; %bb.27:
	v_bfe_u32 v8, v7, 16, 1
	s_movk_i32 s12, 0x7fff
	v_add3_u32 v8, v7, v8, s12
                                        ; implicit-def: $vgpr7
; %bb.28:
	s_andn2_saveexec_b64 s[6:7], s[6:7]
; %bb.29:
	v_mov_b32_e32 v8, 0
	v_or_b32_e32 v9, 0x10000, v7
	v_cmp_eq_u32_sdwa vcc, v7, v8 src0_sel:WORD_0 src1_sel:DWORD
	v_cndmask_b32_e32 v8, v9, v7, vcc
; %bb.30:
	s_or_b64 exec, exec, s[6:7]
	global_store_short_d16_hi v[0:1], v8, off
.LBB107_31:
	s_or_b64 exec, exec, s[2:3]
	v_or_b32_e32 v0, 3, v6
	v_cmp_gt_u32_e32 vcc, s8, v0
	s_and_b64 s[2:3], s[4:5], vcc
	s_and_b64 exec, exec, s[2:3]
	s_cbranch_execz .LBB107_41
; %bb.32:
	v_mad_u64_u32 v[6:7], s[2:3], s0, v0, 0
	v_mad_u64_u32 v[8:9], s[2:3], s10, v0, 0
	v_mov_b32_e32 v1, v7
	v_mad_u64_u32 v[10:11], s[0:1], s1, v0, v[1:2]
	v_mov_b32_e32 v1, v9
	;; [unrolled: 2-line block ×3, first 2 shown]
	v_lshlrev_b64 v[6:7], 1, v[6:7]
	v_mov_b32_e32 v9, v0
	v_add_co_u32_e32 v4, vcc, v4, v6
	v_addc_co_u32_e32 v5, vcc, v5, v7, vcc
	v_lshlrev_b64 v[0:1], 1, v[8:9]
	global_load_ushort v4, v[4:5], off
	v_add_co_u32_e32 v0, vcc, v2, v0
	v_addc_co_u32_e32 v1, vcc, v3, v1, vcc
	global_load_ushort v2, v[0:1], off
	s_mov_b32 s0, 0x7f800000
	s_waitcnt vmcnt(1)
	v_lshlrev_b32_e32 v3, 16, v4
	v_mul_f32_e32 v3, s9, v3
	v_and_b32_e32 v4, 0x7f800000, v3
	v_cmp_ne_u32_e32 vcc, s0, v4
                                        ; implicit-def: $vgpr4
	s_and_saveexec_b64 s[0:1], vcc
	s_xor_b64 s[0:1], exec, s[0:1]
; %bb.33:
	v_bfe_u32 v4, v3, 16, 1
	s_movk_i32 s2, 0x7fff
	v_add3_u32 v4, v3, v4, s2
                                        ; implicit-def: $vgpr3
; %bb.34:
	s_andn2_saveexec_b64 s[0:1], s[0:1]
; %bb.35:
	v_mov_b32_e32 v4, 0
	v_or_b32_e32 v5, 0x10000, v3
	v_cmp_eq_u32_sdwa vcc, v3, v4 src0_sel:WORD_0 src1_sel:DWORD
	v_cndmask_b32_e32 v4, v5, v3, vcc
; %bb.36:
	s_or_b64 exec, exec, s[0:1]
	v_and_b32_e32 v3, 0xffff0000, v4
	s_waitcnt vmcnt(0)
	v_lshlrev_b32_e32 v2, 16, v2
	v_add_f32_e32 v2, v2, v3
	s_mov_b32 s0, 0x7f800000
	v_and_b32_e32 v3, 0x7f800000, v2
	v_cmp_ne_u32_e32 vcc, s0, v3
                                        ; implicit-def: $vgpr3
	s_and_saveexec_b64 s[0:1], vcc
	s_xor_b64 s[0:1], exec, s[0:1]
; %bb.37:
	v_bfe_u32 v3, v2, 16, 1
	s_movk_i32 s2, 0x7fff
	v_add3_u32 v3, v2, v3, s2
                                        ; implicit-def: $vgpr2
; %bb.38:
	s_andn2_saveexec_b64 s[0:1], s[0:1]
; %bb.39:
	v_mov_b32_e32 v3, 0
	v_or_b32_e32 v4, 0x10000, v2
	v_cmp_eq_u32_sdwa vcc, v2, v3 src0_sel:WORD_0 src1_sel:DWORD
	v_cndmask_b32_e32 v3, v4, v2, vcc
; %bb.40:
	s_or_b64 exec, exec, s[0:1]
	global_store_short_d16_hi v[0:1], v3, off
.LBB107_41:
	s_endpgm
	.section	.rodata,"a",@progbits
	.p2align	6, 0x0
	.amdhsa_kernel _ZL27rocblas_axpy_kernel_batchedIiLi128ELi8EffPK16rocblas_bfloat16PS0_EviT3_lT4_lT_lT5_lS6_li
		.amdhsa_group_segment_fixed_size 0
		.amdhsa_private_segment_fixed_size 0
		.amdhsa_kernarg_size 84
		.amdhsa_user_sgpr_count 6
		.amdhsa_user_sgpr_private_segment_buffer 1
		.amdhsa_user_sgpr_dispatch_ptr 0
		.amdhsa_user_sgpr_queue_ptr 0
		.amdhsa_user_sgpr_kernarg_segment_ptr 1
		.amdhsa_user_sgpr_dispatch_id 0
		.amdhsa_user_sgpr_flat_scratch_init 0
		.amdhsa_user_sgpr_private_segment_size 0
		.amdhsa_uses_dynamic_stack 0
		.amdhsa_system_sgpr_private_segment_wavefront_offset 0
		.amdhsa_system_sgpr_workgroup_id_x 1
		.amdhsa_system_sgpr_workgroup_id_y 0
		.amdhsa_system_sgpr_workgroup_id_z 1
		.amdhsa_system_sgpr_workgroup_info 0
		.amdhsa_system_vgpr_workitem_id 1
		.amdhsa_next_free_vgpr 13
		.amdhsa_next_free_sgpr 20
		.amdhsa_reserve_vcc 1
		.amdhsa_reserve_flat_scratch 0
		.amdhsa_float_round_mode_32 0
		.amdhsa_float_round_mode_16_64 0
		.amdhsa_float_denorm_mode_32 3
		.amdhsa_float_denorm_mode_16_64 3
		.amdhsa_dx10_clamp 1
		.amdhsa_ieee_mode 1
		.amdhsa_fp16_overflow 0
		.amdhsa_exception_fp_ieee_invalid_op 0
		.amdhsa_exception_fp_denorm_src 0
		.amdhsa_exception_fp_ieee_div_zero 0
		.amdhsa_exception_fp_ieee_overflow 0
		.amdhsa_exception_fp_ieee_underflow 0
		.amdhsa_exception_fp_ieee_inexact 0
		.amdhsa_exception_int_div_zero 0
	.end_amdhsa_kernel
	.section	.text._ZL27rocblas_axpy_kernel_batchedIiLi128ELi8EffPK16rocblas_bfloat16PS0_EviT3_lT4_lT_lT5_lS6_li,"axG",@progbits,_ZL27rocblas_axpy_kernel_batchedIiLi128ELi8EffPK16rocblas_bfloat16PS0_EviT3_lT4_lT_lT5_lS6_li,comdat
.Lfunc_end107:
	.size	_ZL27rocblas_axpy_kernel_batchedIiLi128ELi8EffPK16rocblas_bfloat16PS0_EviT3_lT4_lT_lT5_lS6_li, .Lfunc_end107-_ZL27rocblas_axpy_kernel_batchedIiLi128ELi8EffPK16rocblas_bfloat16PS0_EviT3_lT4_lT_lT5_lS6_li
                                        ; -- End function
	.set _ZL27rocblas_axpy_kernel_batchedIiLi128ELi8EffPK16rocblas_bfloat16PS0_EviT3_lT4_lT_lT5_lS6_li.num_vgpr, 13
	.set _ZL27rocblas_axpy_kernel_batchedIiLi128ELi8EffPK16rocblas_bfloat16PS0_EviT3_lT4_lT_lT5_lS6_li.num_agpr, 0
	.set _ZL27rocblas_axpy_kernel_batchedIiLi128ELi8EffPK16rocblas_bfloat16PS0_EviT3_lT4_lT_lT5_lS6_li.numbered_sgpr, 20
	.set _ZL27rocblas_axpy_kernel_batchedIiLi128ELi8EffPK16rocblas_bfloat16PS0_EviT3_lT4_lT_lT5_lS6_li.num_named_barrier, 0
	.set _ZL27rocblas_axpy_kernel_batchedIiLi128ELi8EffPK16rocblas_bfloat16PS0_EviT3_lT4_lT_lT5_lS6_li.private_seg_size, 0
	.set _ZL27rocblas_axpy_kernel_batchedIiLi128ELi8EffPK16rocblas_bfloat16PS0_EviT3_lT4_lT_lT5_lS6_li.uses_vcc, 1
	.set _ZL27rocblas_axpy_kernel_batchedIiLi128ELi8EffPK16rocblas_bfloat16PS0_EviT3_lT4_lT_lT5_lS6_li.uses_flat_scratch, 0
	.set _ZL27rocblas_axpy_kernel_batchedIiLi128ELi8EffPK16rocblas_bfloat16PS0_EviT3_lT4_lT_lT5_lS6_li.has_dyn_sized_stack, 0
	.set _ZL27rocblas_axpy_kernel_batchedIiLi128ELi8EffPK16rocblas_bfloat16PS0_EviT3_lT4_lT_lT5_lS6_li.has_recursion, 0
	.set _ZL27rocblas_axpy_kernel_batchedIiLi128ELi8EffPK16rocblas_bfloat16PS0_EviT3_lT4_lT_lT5_lS6_li.has_indirect_call, 0
	.section	.AMDGPU.csdata,"",@progbits
; Kernel info:
; codeLenInByte = 1504
; TotalNumSgprs: 24
; NumVgprs: 13
; ScratchSize: 0
; MemoryBound: 0
; FloatMode: 240
; IeeeMode: 1
; LDSByteSize: 0 bytes/workgroup (compile time only)
; SGPRBlocks: 2
; VGPRBlocks: 3
; NumSGPRsForWavesPerEU: 24
; NumVGPRsForWavesPerEU: 13
; Occupancy: 10
; WaveLimiterHint : 0
; COMPUTE_PGM_RSRC2:SCRATCH_EN: 0
; COMPUTE_PGM_RSRC2:USER_SGPR: 6
; COMPUTE_PGM_RSRC2:TRAP_HANDLER: 0
; COMPUTE_PGM_RSRC2:TGID_X_EN: 1
; COMPUTE_PGM_RSRC2:TGID_Y_EN: 0
; COMPUTE_PGM_RSRC2:TGID_Z_EN: 1
; COMPUTE_PGM_RSRC2:TIDIG_COMP_CNT: 1
	.section	.text._ZL19rocblas_axpy_kernelIiLi256EfPKfPK16rocblas_bfloat16PS2_EviT2_lT3_lT_lT4_lS8_li,"axG",@progbits,_ZL19rocblas_axpy_kernelIiLi256EfPKfPK16rocblas_bfloat16PS2_EviT2_lT3_lT_lT4_lS8_li,comdat
	.globl	_ZL19rocblas_axpy_kernelIiLi256EfPKfPK16rocblas_bfloat16PS2_EviT2_lT3_lT_lT4_lS8_li ; -- Begin function _ZL19rocblas_axpy_kernelIiLi256EfPKfPK16rocblas_bfloat16PS2_EviT2_lT3_lT_lT4_lS8_li
	.p2align	8
	.type	_ZL19rocblas_axpy_kernelIiLi256EfPKfPK16rocblas_bfloat16PS2_EviT2_lT3_lT_lT4_lS8_li,@function
_ZL19rocblas_axpy_kernelIiLi256EfPKfPK16rocblas_bfloat16PS2_EviT2_lT3_lT_lT4_lS8_li: ; @_ZL19rocblas_axpy_kernelIiLi256EfPKfPK16rocblas_bfloat16PS2_EviT2_lT3_lT_lT4_lS8_li
; %bb.0:
	s_load_dword s10, s[4:5], 0x0
	s_load_dwordx4 s[0:3], s[4:5], 0x8
	v_lshl_or_b32 v0, s6, 8, v0
	v_mov_b32_e32 v1, 0
	s_waitcnt lgkmcnt(0)
	s_ashr_i32 s11, s10, 31
	s_mul_i32 s3, s3, s7
	s_mul_hi_u32 s8, s2, s7
	s_add_i32 s3, s8, s3
	s_mul_i32 s2, s2, s7
	s_lshl_b64 s[2:3], s[2:3], 2
	s_add_u32 s0, s0, s2
	s_addc_u32 s1, s1, s3
	s_load_dword s8, s[0:1], 0x0
	v_cmp_gt_i64_e32 vcc, s[10:11], v[0:1]
	s_waitcnt lgkmcnt(0)
	v_cmp_neq_f32_e64 s[0:1], s8, 0
	s_and_b64 s[0:1], vcc, s[0:1]
	s_and_saveexec_b64 s[2:3], s[0:1]
	s_cbranch_execz .LBB108_10
; %bb.1:
	s_load_dword s6, s[4:5], 0x28
	s_load_dwordx4 s[12:15], s[4:5], 0x18
	s_waitcnt lgkmcnt(0)
	v_mad_u64_u32 v[1:2], s[0:1], s6, v0, 0
	s_load_dwordx4 s[0:3], s[4:5], 0x30
	s_load_dwordx2 s[10:11], s[4:5], 0x40
	s_load_dword s9, s[4:5], 0x48
	s_ashr_i32 s6, s6, 31
	v_mad_u64_u32 v[2:3], s[16:17], s6, v0, v[2:3]
	s_waitcnt lgkmcnt(0)
	s_mul_i32 s1, s1, s7
	s_mul_hi_u32 s16, s0, s7
	s_add_i32 s1, s16, s1
	s_mul_i32 s0, s0, s7
	s_ashr_i32 s6, s9, 31
	s_lshl_b64 s[0:1], s[0:1], 1
	s_add_u32 s12, s12, s0
	s_addc_u32 s16, s13, s1
	s_lshl_b64 s[0:1], s[14:15], 1
	s_load_dwordx2 s[4:5], s[4:5], 0x50
	s_add_u32 s14, s12, s0
	v_mad_u64_u32 v[3:4], s[12:13], s9, v0, 0
	s_addc_u32 s0, s16, s1
	v_mov_b32_e32 v6, s0
	v_mad_u64_u32 v[4:5], s[0:1], s6, v0, v[4:5]
	s_waitcnt lgkmcnt(0)
	s_mul_i32 s0, s5, s7
	s_mul_hi_u32 s1, s4, s7
	v_lshlrev_b64 v[1:2], 1, v[1:2]
	s_add_i32 s1, s1, s0
	s_mul_i32 s0, s4, s7
	s_lshl_b64 s[0:1], s[0:1], 1
	v_add_co_u32_e32 v0, vcc, s14, v1
	s_add_u32 s2, s2, s0
	v_addc_co_u32_e32 v1, vcc, v6, v2, vcc
	s_addc_u32 s3, s3, s1
	s_lshl_b64 s[0:1], s[10:11], 1
	s_add_u32 s0, s2, s0
	v_lshlrev_b64 v[2:3], 1, v[3:4]
	global_load_ushort v5, v[0:1], off
	s_addc_u32 s1, s3, s1
	v_mov_b32_e32 v4, s1
	v_add_co_u32_e32 v0, vcc, s0, v2
	v_addc_co_u32_e32 v1, vcc, v4, v3, vcc
	global_load_ushort v2, v[0:1], off
	s_mov_b32 s0, 0x7f800000
	s_waitcnt vmcnt(1)
	v_lshlrev_b32_e32 v3, 16, v5
	v_mul_f32_e32 v3, s8, v3
	v_and_b32_e32 v4, 0x7f800000, v3
	v_cmp_ne_u32_e32 vcc, s0, v4
                                        ; implicit-def: $vgpr4
	s_and_saveexec_b64 s[0:1], vcc
	s_xor_b64 s[0:1], exec, s[0:1]
; %bb.2:
	v_bfe_u32 v4, v3, 16, 1
	s_movk_i32 s2, 0x7fff
	v_add3_u32 v4, v3, v4, s2
                                        ; implicit-def: $vgpr3
; %bb.3:
	s_andn2_saveexec_b64 s[0:1], s[0:1]
; %bb.4:
	v_mov_b32_e32 v4, 0
	v_or_b32_e32 v5, 0x10000, v3
	v_cmp_eq_u32_sdwa vcc, v3, v4 src0_sel:WORD_0 src1_sel:DWORD
	v_cndmask_b32_e32 v4, v5, v3, vcc
; %bb.5:
	s_or_b64 exec, exec, s[0:1]
	v_and_b32_e32 v3, 0xffff0000, v4
	s_waitcnt vmcnt(0)
	v_lshlrev_b32_e32 v2, 16, v2
	v_add_f32_e32 v2, v2, v3
	s_mov_b32 s0, 0x7f800000
	v_and_b32_e32 v3, 0x7f800000, v2
	v_cmp_ne_u32_e32 vcc, s0, v3
                                        ; implicit-def: $vgpr3
	s_and_saveexec_b64 s[0:1], vcc
	s_xor_b64 s[0:1], exec, s[0:1]
; %bb.6:
	v_bfe_u32 v3, v2, 16, 1
	s_movk_i32 s2, 0x7fff
	v_add3_u32 v3, v2, v3, s2
                                        ; implicit-def: $vgpr2
; %bb.7:
	s_andn2_saveexec_b64 s[0:1], s[0:1]
; %bb.8:
	v_mov_b32_e32 v3, 0
	v_or_b32_e32 v4, 0x10000, v2
	v_cmp_eq_u32_sdwa vcc, v2, v3 src0_sel:WORD_0 src1_sel:DWORD
	v_cndmask_b32_e32 v3, v4, v2, vcc
; %bb.9:
	s_or_b64 exec, exec, s[0:1]
	global_store_short_d16_hi v[0:1], v3, off
.LBB108_10:
	s_endpgm
	.section	.rodata,"a",@progbits
	.p2align	6, 0x0
	.amdhsa_kernel _ZL19rocblas_axpy_kernelIiLi256EfPKfPK16rocblas_bfloat16PS2_EviT2_lT3_lT_lT4_lS8_li
		.amdhsa_group_segment_fixed_size 0
		.amdhsa_private_segment_fixed_size 0
		.amdhsa_kernarg_size 92
		.amdhsa_user_sgpr_count 6
		.amdhsa_user_sgpr_private_segment_buffer 1
		.amdhsa_user_sgpr_dispatch_ptr 0
		.amdhsa_user_sgpr_queue_ptr 0
		.amdhsa_user_sgpr_kernarg_segment_ptr 1
		.amdhsa_user_sgpr_dispatch_id 0
		.amdhsa_user_sgpr_flat_scratch_init 0
		.amdhsa_user_sgpr_private_segment_size 0
		.amdhsa_uses_dynamic_stack 0
		.amdhsa_system_sgpr_private_segment_wavefront_offset 0
		.amdhsa_system_sgpr_workgroup_id_x 1
		.amdhsa_system_sgpr_workgroup_id_y 0
		.amdhsa_system_sgpr_workgroup_id_z 1
		.amdhsa_system_sgpr_workgroup_info 0
		.amdhsa_system_vgpr_workitem_id 0
		.amdhsa_next_free_vgpr 7
		.amdhsa_next_free_sgpr 18
		.amdhsa_reserve_vcc 1
		.amdhsa_reserve_flat_scratch 0
		.amdhsa_float_round_mode_32 0
		.amdhsa_float_round_mode_16_64 0
		.amdhsa_float_denorm_mode_32 3
		.amdhsa_float_denorm_mode_16_64 3
		.amdhsa_dx10_clamp 1
		.amdhsa_ieee_mode 1
		.amdhsa_fp16_overflow 0
		.amdhsa_exception_fp_ieee_invalid_op 0
		.amdhsa_exception_fp_denorm_src 0
		.amdhsa_exception_fp_ieee_div_zero 0
		.amdhsa_exception_fp_ieee_overflow 0
		.amdhsa_exception_fp_ieee_underflow 0
		.amdhsa_exception_fp_ieee_inexact 0
		.amdhsa_exception_int_div_zero 0
	.end_amdhsa_kernel
	.section	.text._ZL19rocblas_axpy_kernelIiLi256EfPKfPK16rocblas_bfloat16PS2_EviT2_lT3_lT_lT4_lS8_li,"axG",@progbits,_ZL19rocblas_axpy_kernelIiLi256EfPKfPK16rocblas_bfloat16PS2_EviT2_lT3_lT_lT4_lS8_li,comdat
.Lfunc_end108:
	.size	_ZL19rocblas_axpy_kernelIiLi256EfPKfPK16rocblas_bfloat16PS2_EviT2_lT3_lT_lT4_lS8_li, .Lfunc_end108-_ZL19rocblas_axpy_kernelIiLi256EfPKfPK16rocblas_bfloat16PS2_EviT2_lT3_lT_lT4_lS8_li
                                        ; -- End function
	.set _ZL19rocblas_axpy_kernelIiLi256EfPKfPK16rocblas_bfloat16PS2_EviT2_lT3_lT_lT4_lS8_li.num_vgpr, 7
	.set _ZL19rocblas_axpy_kernelIiLi256EfPKfPK16rocblas_bfloat16PS2_EviT2_lT3_lT_lT4_lS8_li.num_agpr, 0
	.set _ZL19rocblas_axpy_kernelIiLi256EfPKfPK16rocblas_bfloat16PS2_EviT2_lT3_lT_lT4_lS8_li.numbered_sgpr, 18
	.set _ZL19rocblas_axpy_kernelIiLi256EfPKfPK16rocblas_bfloat16PS2_EviT2_lT3_lT_lT4_lS8_li.num_named_barrier, 0
	.set _ZL19rocblas_axpy_kernelIiLi256EfPKfPK16rocblas_bfloat16PS2_EviT2_lT3_lT_lT4_lS8_li.private_seg_size, 0
	.set _ZL19rocblas_axpy_kernelIiLi256EfPKfPK16rocblas_bfloat16PS2_EviT2_lT3_lT_lT4_lS8_li.uses_vcc, 1
	.set _ZL19rocblas_axpy_kernelIiLi256EfPKfPK16rocblas_bfloat16PS2_EviT2_lT3_lT_lT4_lS8_li.uses_flat_scratch, 0
	.set _ZL19rocblas_axpy_kernelIiLi256EfPKfPK16rocblas_bfloat16PS2_EviT2_lT3_lT_lT4_lS8_li.has_dyn_sized_stack, 0
	.set _ZL19rocblas_axpy_kernelIiLi256EfPKfPK16rocblas_bfloat16PS2_EviT2_lT3_lT_lT4_lS8_li.has_recursion, 0
	.set _ZL19rocblas_axpy_kernelIiLi256EfPKfPK16rocblas_bfloat16PS2_EviT2_lT3_lT_lT4_lS8_li.has_indirect_call, 0
	.section	.AMDGPU.csdata,"",@progbits
; Kernel info:
; codeLenInByte = 540
; TotalNumSgprs: 22
; NumVgprs: 7
; ScratchSize: 0
; MemoryBound: 0
; FloatMode: 240
; IeeeMode: 1
; LDSByteSize: 0 bytes/workgroup (compile time only)
; SGPRBlocks: 2
; VGPRBlocks: 1
; NumSGPRsForWavesPerEU: 22
; NumVGPRsForWavesPerEU: 7
; Occupancy: 10
; WaveLimiterHint : 0
; COMPUTE_PGM_RSRC2:SCRATCH_EN: 0
; COMPUTE_PGM_RSRC2:USER_SGPR: 6
; COMPUTE_PGM_RSRC2:TRAP_HANDLER: 0
; COMPUTE_PGM_RSRC2:TGID_X_EN: 1
; COMPUTE_PGM_RSRC2:TGID_Y_EN: 0
; COMPUTE_PGM_RSRC2:TGID_Z_EN: 1
; COMPUTE_PGM_RSRC2:TIDIG_COMP_CNT: 0
	.section	.text._ZL19rocblas_axpy_kernelIiLi256EffPK16rocblas_bfloat16PS0_EviT2_lT3_lT_lT4_lS6_li,"axG",@progbits,_ZL19rocblas_axpy_kernelIiLi256EffPK16rocblas_bfloat16PS0_EviT2_lT3_lT_lT4_lS6_li,comdat
	.globl	_ZL19rocblas_axpy_kernelIiLi256EffPK16rocblas_bfloat16PS0_EviT2_lT3_lT_lT4_lS6_li ; -- Begin function _ZL19rocblas_axpy_kernelIiLi256EffPK16rocblas_bfloat16PS0_EviT2_lT3_lT_lT4_lS6_li
	.p2align	8
	.type	_ZL19rocblas_axpy_kernelIiLi256EffPK16rocblas_bfloat16PS0_EviT2_lT3_lT_lT4_lS6_li,@function
_ZL19rocblas_axpy_kernelIiLi256EffPK16rocblas_bfloat16PS0_EviT2_lT3_lT_lT4_lS6_li: ; @_ZL19rocblas_axpy_kernelIiLi256EffPK16rocblas_bfloat16PS0_EviT2_lT3_lT_lT4_lS6_li
; %bb.0:
	s_load_dwordx2 s[8:9], s[4:5], 0x0
	v_lshl_or_b32 v0, s6, 8, v0
	v_mov_b32_e32 v1, 0
	s_waitcnt lgkmcnt(0)
	s_ashr_i32 s1, s8, 31
	s_mov_b32 s0, s8
	v_cmp_gt_i64_e32 vcc, s[0:1], v[0:1]
	v_cmp_neq_f32_e64 s[0:1], s9, 0
	s_and_b64 s[0:1], s[0:1], vcc
	s_and_saveexec_b64 s[2:3], s[0:1]
	s_cbranch_execz .LBB109_10
; %bb.1:
	s_load_dword s6, s[4:5], 0x20
	s_load_dwordx4 s[12:15], s[4:5], 0x10
	s_waitcnt lgkmcnt(0)
	v_mad_u64_u32 v[1:2], s[0:1], s6, v0, 0
	s_load_dwordx4 s[0:3], s[4:5], 0x28
	s_load_dwordx2 s[10:11], s[4:5], 0x38
	s_load_dword s8, s[4:5], 0x40
	s_ashr_i32 s6, s6, 31
	v_mad_u64_u32 v[2:3], s[16:17], s6, v0, v[2:3]
	s_waitcnt lgkmcnt(0)
	s_mul_i32 s1, s1, s7
	s_mul_hi_u32 s16, s0, s7
	s_add_i32 s1, s16, s1
	s_mul_i32 s0, s0, s7
	s_ashr_i32 s6, s8, 31
	s_lshl_b64 s[0:1], s[0:1], 1
	s_add_u32 s12, s12, s0
	s_addc_u32 s16, s13, s1
	s_lshl_b64 s[0:1], s[14:15], 1
	s_load_dwordx2 s[4:5], s[4:5], 0x48
	s_add_u32 s14, s12, s0
	v_mad_u64_u32 v[3:4], s[12:13], s8, v0, 0
	s_addc_u32 s0, s16, s1
	v_mov_b32_e32 v6, s0
	v_mad_u64_u32 v[4:5], s[0:1], s6, v0, v[4:5]
	s_waitcnt lgkmcnt(0)
	s_mul_i32 s0, s5, s7
	s_mul_hi_u32 s1, s4, s7
	v_lshlrev_b64 v[1:2], 1, v[1:2]
	s_add_i32 s1, s1, s0
	s_mul_i32 s0, s4, s7
	s_lshl_b64 s[0:1], s[0:1], 1
	v_add_co_u32_e32 v0, vcc, s14, v1
	s_add_u32 s2, s2, s0
	v_addc_co_u32_e32 v1, vcc, v6, v2, vcc
	s_addc_u32 s3, s3, s1
	s_lshl_b64 s[0:1], s[10:11], 1
	s_add_u32 s0, s2, s0
	v_lshlrev_b64 v[2:3], 1, v[3:4]
	global_load_ushort v5, v[0:1], off
	s_addc_u32 s1, s3, s1
	v_mov_b32_e32 v4, s1
	v_add_co_u32_e32 v0, vcc, s0, v2
	v_addc_co_u32_e32 v1, vcc, v4, v3, vcc
	global_load_ushort v2, v[0:1], off
	s_mov_b32 s0, 0x7f800000
	s_waitcnt vmcnt(1)
	v_lshlrev_b32_e32 v3, 16, v5
	v_mul_f32_e32 v3, s9, v3
	v_and_b32_e32 v4, 0x7f800000, v3
	v_cmp_ne_u32_e32 vcc, s0, v4
                                        ; implicit-def: $vgpr4
	s_and_saveexec_b64 s[0:1], vcc
	s_xor_b64 s[0:1], exec, s[0:1]
; %bb.2:
	v_bfe_u32 v4, v3, 16, 1
	s_movk_i32 s2, 0x7fff
	v_add3_u32 v4, v3, v4, s2
                                        ; implicit-def: $vgpr3
; %bb.3:
	s_andn2_saveexec_b64 s[0:1], s[0:1]
; %bb.4:
	v_mov_b32_e32 v4, 0
	v_or_b32_e32 v5, 0x10000, v3
	v_cmp_eq_u32_sdwa vcc, v3, v4 src0_sel:WORD_0 src1_sel:DWORD
	v_cndmask_b32_e32 v4, v5, v3, vcc
; %bb.5:
	s_or_b64 exec, exec, s[0:1]
	v_and_b32_e32 v3, 0xffff0000, v4
	s_waitcnt vmcnt(0)
	v_lshlrev_b32_e32 v2, 16, v2
	v_add_f32_e32 v2, v2, v3
	s_mov_b32 s0, 0x7f800000
	v_and_b32_e32 v3, 0x7f800000, v2
	v_cmp_ne_u32_e32 vcc, s0, v3
                                        ; implicit-def: $vgpr3
	s_and_saveexec_b64 s[0:1], vcc
	s_xor_b64 s[0:1], exec, s[0:1]
; %bb.6:
	v_bfe_u32 v3, v2, 16, 1
	s_movk_i32 s2, 0x7fff
	v_add3_u32 v3, v2, v3, s2
                                        ; implicit-def: $vgpr2
; %bb.7:
	s_andn2_saveexec_b64 s[0:1], s[0:1]
; %bb.8:
	v_mov_b32_e32 v3, 0
	v_or_b32_e32 v4, 0x10000, v2
	v_cmp_eq_u32_sdwa vcc, v2, v3 src0_sel:WORD_0 src1_sel:DWORD
	v_cndmask_b32_e32 v3, v4, v2, vcc
; %bb.9:
	s_or_b64 exec, exec, s[0:1]
	global_store_short_d16_hi v[0:1], v3, off
.LBB109_10:
	s_endpgm
	.section	.rodata,"a",@progbits
	.p2align	6, 0x0
	.amdhsa_kernel _ZL19rocblas_axpy_kernelIiLi256EffPK16rocblas_bfloat16PS0_EviT2_lT3_lT_lT4_lS6_li
		.amdhsa_group_segment_fixed_size 0
		.amdhsa_private_segment_fixed_size 0
		.amdhsa_kernarg_size 84
		.amdhsa_user_sgpr_count 6
		.amdhsa_user_sgpr_private_segment_buffer 1
		.amdhsa_user_sgpr_dispatch_ptr 0
		.amdhsa_user_sgpr_queue_ptr 0
		.amdhsa_user_sgpr_kernarg_segment_ptr 1
		.amdhsa_user_sgpr_dispatch_id 0
		.amdhsa_user_sgpr_flat_scratch_init 0
		.amdhsa_user_sgpr_private_segment_size 0
		.amdhsa_uses_dynamic_stack 0
		.amdhsa_system_sgpr_private_segment_wavefront_offset 0
		.amdhsa_system_sgpr_workgroup_id_x 1
		.amdhsa_system_sgpr_workgroup_id_y 0
		.amdhsa_system_sgpr_workgroup_id_z 1
		.amdhsa_system_sgpr_workgroup_info 0
		.amdhsa_system_vgpr_workitem_id 0
		.amdhsa_next_free_vgpr 7
		.amdhsa_next_free_sgpr 18
		.amdhsa_reserve_vcc 1
		.amdhsa_reserve_flat_scratch 0
		.amdhsa_float_round_mode_32 0
		.amdhsa_float_round_mode_16_64 0
		.amdhsa_float_denorm_mode_32 3
		.amdhsa_float_denorm_mode_16_64 3
		.amdhsa_dx10_clamp 1
		.amdhsa_ieee_mode 1
		.amdhsa_fp16_overflow 0
		.amdhsa_exception_fp_ieee_invalid_op 0
		.amdhsa_exception_fp_denorm_src 0
		.amdhsa_exception_fp_ieee_div_zero 0
		.amdhsa_exception_fp_ieee_overflow 0
		.amdhsa_exception_fp_ieee_underflow 0
		.amdhsa_exception_fp_ieee_inexact 0
		.amdhsa_exception_int_div_zero 0
	.end_amdhsa_kernel
	.section	.text._ZL19rocblas_axpy_kernelIiLi256EffPK16rocblas_bfloat16PS0_EviT2_lT3_lT_lT4_lS6_li,"axG",@progbits,_ZL19rocblas_axpy_kernelIiLi256EffPK16rocblas_bfloat16PS0_EviT2_lT3_lT_lT4_lS6_li,comdat
.Lfunc_end109:
	.size	_ZL19rocblas_axpy_kernelIiLi256EffPK16rocblas_bfloat16PS0_EviT2_lT3_lT_lT4_lS6_li, .Lfunc_end109-_ZL19rocblas_axpy_kernelIiLi256EffPK16rocblas_bfloat16PS0_EviT2_lT3_lT_lT4_lS6_li
                                        ; -- End function
	.set _ZL19rocblas_axpy_kernelIiLi256EffPK16rocblas_bfloat16PS0_EviT2_lT3_lT_lT4_lS6_li.num_vgpr, 7
	.set _ZL19rocblas_axpy_kernelIiLi256EffPK16rocblas_bfloat16PS0_EviT2_lT3_lT_lT4_lS6_li.num_agpr, 0
	.set _ZL19rocblas_axpy_kernelIiLi256EffPK16rocblas_bfloat16PS0_EviT2_lT3_lT_lT4_lS6_li.numbered_sgpr, 18
	.set _ZL19rocblas_axpy_kernelIiLi256EffPK16rocblas_bfloat16PS0_EviT2_lT3_lT_lT4_lS6_li.num_named_barrier, 0
	.set _ZL19rocblas_axpy_kernelIiLi256EffPK16rocblas_bfloat16PS0_EviT2_lT3_lT_lT4_lS6_li.private_seg_size, 0
	.set _ZL19rocblas_axpy_kernelIiLi256EffPK16rocblas_bfloat16PS0_EviT2_lT3_lT_lT4_lS6_li.uses_vcc, 1
	.set _ZL19rocblas_axpy_kernelIiLi256EffPK16rocblas_bfloat16PS0_EviT2_lT3_lT_lT4_lS6_li.uses_flat_scratch, 0
	.set _ZL19rocblas_axpy_kernelIiLi256EffPK16rocblas_bfloat16PS0_EviT2_lT3_lT_lT4_lS6_li.has_dyn_sized_stack, 0
	.set _ZL19rocblas_axpy_kernelIiLi256EffPK16rocblas_bfloat16PS0_EviT2_lT3_lT_lT4_lS6_li.has_recursion, 0
	.set _ZL19rocblas_axpy_kernelIiLi256EffPK16rocblas_bfloat16PS0_EviT2_lT3_lT_lT4_lS6_li.has_indirect_call, 0
	.section	.AMDGPU.csdata,"",@progbits
; Kernel info:
; codeLenInByte = 496
; TotalNumSgprs: 22
; NumVgprs: 7
; ScratchSize: 0
; MemoryBound: 0
; FloatMode: 240
; IeeeMode: 1
; LDSByteSize: 0 bytes/workgroup (compile time only)
; SGPRBlocks: 2
; VGPRBlocks: 1
; NumSGPRsForWavesPerEU: 22
; NumVGPRsForWavesPerEU: 7
; Occupancy: 10
; WaveLimiterHint : 0
; COMPUTE_PGM_RSRC2:SCRATCH_EN: 0
; COMPUTE_PGM_RSRC2:USER_SGPR: 6
; COMPUTE_PGM_RSRC2:TRAP_HANDLER: 0
; COMPUTE_PGM_RSRC2:TGID_X_EN: 1
; COMPUTE_PGM_RSRC2:TGID_Y_EN: 0
; COMPUTE_PGM_RSRC2:TGID_Z_EN: 1
; COMPUTE_PGM_RSRC2:TIDIG_COMP_CNT: 0
	.section	.text._ZL26rocblas_haxpy_mlt_8_kernelILi256EPKDF16_S1_PDF16_EviT0_lT1_llT2_lli,"axG",@progbits,_ZL26rocblas_haxpy_mlt_8_kernelILi256EPKDF16_S1_PDF16_EviT0_lT1_llT2_lli,comdat
	.globl	_ZL26rocblas_haxpy_mlt_8_kernelILi256EPKDF16_S1_PDF16_EviT0_lT1_llT2_lli ; -- Begin function _ZL26rocblas_haxpy_mlt_8_kernelILi256EPKDF16_S1_PDF16_EviT0_lT1_llT2_lli
	.p2align	8
	.type	_ZL26rocblas_haxpy_mlt_8_kernelILi256EPKDF16_S1_PDF16_EviT0_lT1_llT2_lli,@function
_ZL26rocblas_haxpy_mlt_8_kernelILi256EPKDF16_S1_PDF16_EviT0_lT1_llT2_lli: ; @_ZL26rocblas_haxpy_mlt_8_kernelILi256EPKDF16_S1_PDF16_EviT0_lT1_llT2_lli
; %bb.0:
	s_load_dwordx16 s[8:23], s[4:5], 0x8
	v_mov_b32_e32 v1, 0
	s_waitcnt lgkmcnt(0)
	s_mul_i32 s0, s11, s7
	s_mul_hi_u32 s1, s10, s7
	s_add_i32 s1, s1, s0
	s_mul_i32 s0, s10, s7
	s_lshl_b64 s[0:1], s[0:1], 1
	s_add_u32 s0, s8, s0
	s_addc_u32 s1, s9, s1
	global_load_ushort v2, v1, s[0:1]
	s_waitcnt vmcnt(0)
	v_and_b32_e32 v3, 0xffff, v2
	v_lshl_or_b32 v3, v2, 16, v3
	v_and_b32_e32 v3, 0x7fff, v3
	v_cmp_eq_u32_e32 vcc, 0, v3
	s_cbranch_vccnz .LBB110_3
; %bb.1:
	s_load_dword s0, s[4:5], 0x0
	v_lshl_or_b32 v0, s6, 8, v0
	v_lshlrev_b64 v[0:1], 3, v[0:1]
	s_waitcnt lgkmcnt(0)
	s_ashr_i32 s1, s0, 31
	v_cmp_gt_i64_e32 vcc, s[0:1], v[0:1]
	s_and_saveexec_b64 s[0:1], vcc
	s_cbranch_execz .LBB110_3
; %bb.2:
	s_mul_i32 s0, s17, s7
	s_mul_hi_u32 s1, s16, s7
	s_add_i32 s1, s1, s0
	s_mul_i32 s0, s16, s7
	s_lshl_b64 s[0:1], s[0:1], 1
	s_add_u32 s2, s12, s0
	s_addc_u32 s3, s13, s1
	s_lshl_b64 s[0:1], s[14:15], 1
	s_add_u32 s0, s2, s0
	v_lshlrev_b64 v[0:1], 1, v[0:1]
	s_addc_u32 s1, s3, s1
	v_mov_b32_e32 v3, s1
	v_add_co_u32_e32 v11, vcc, s0, v0
	s_mul_i32 s0, s23, s7
	s_mul_hi_u32 s1, s22, s7
	s_add_i32 s1, s1, s0
	s_mul_i32 s0, s22, s7
	s_lshl_b64 s[0:1], s[0:1], 1
	s_add_u32 s2, s18, s0
	s_addc_u32 s3, s19, s1
	s_lshl_b64 s[0:1], s[20:21], 1
	s_add_u32 s0, s2, s0
	v_addc_co_u32_e32 v12, vcc, v3, v1, vcc
	s_addc_u32 s1, s3, s1
	v_mov_b32_e32 v3, s1
	v_add_co_u32_e32 v0, vcc, s0, v0
	v_addc_co_u32_e32 v1, vcc, v3, v1, vcc
	global_load_dwordx4 v[3:6], v[11:12], off
	global_load_dwordx4 v[7:10], v[0:1], off
	s_waitcnt vmcnt(0)
	v_pk_fma_f16 v6, v2, v6, v10 op_sel_hi:[0,1,1]
	v_pk_fma_f16 v5, v2, v5, v9 op_sel_hi:[0,1,1]
	;; [unrolled: 1-line block ×4, first 2 shown]
	global_store_dwordx4 v[0:1], v[3:6], off
.LBB110_3:
	s_endpgm
	.section	.rodata,"a",@progbits
	.p2align	6, 0x0
	.amdhsa_kernel _ZL26rocblas_haxpy_mlt_8_kernelILi256EPKDF16_S1_PDF16_EviT0_lT1_llT2_lli
		.amdhsa_group_segment_fixed_size 0
		.amdhsa_private_segment_fixed_size 0
		.amdhsa_kernarg_size 76
		.amdhsa_user_sgpr_count 6
		.amdhsa_user_sgpr_private_segment_buffer 1
		.amdhsa_user_sgpr_dispatch_ptr 0
		.amdhsa_user_sgpr_queue_ptr 0
		.amdhsa_user_sgpr_kernarg_segment_ptr 1
		.amdhsa_user_sgpr_dispatch_id 0
		.amdhsa_user_sgpr_flat_scratch_init 0
		.amdhsa_user_sgpr_private_segment_size 0
		.amdhsa_uses_dynamic_stack 0
		.amdhsa_system_sgpr_private_segment_wavefront_offset 0
		.amdhsa_system_sgpr_workgroup_id_x 1
		.amdhsa_system_sgpr_workgroup_id_y 0
		.amdhsa_system_sgpr_workgroup_id_z 1
		.amdhsa_system_sgpr_workgroup_info 0
		.amdhsa_system_vgpr_workitem_id 0
		.amdhsa_next_free_vgpr 13
		.amdhsa_next_free_sgpr 24
		.amdhsa_reserve_vcc 1
		.amdhsa_reserve_flat_scratch 0
		.amdhsa_float_round_mode_32 0
		.amdhsa_float_round_mode_16_64 0
		.amdhsa_float_denorm_mode_32 3
		.amdhsa_float_denorm_mode_16_64 3
		.amdhsa_dx10_clamp 1
		.amdhsa_ieee_mode 1
		.amdhsa_fp16_overflow 0
		.amdhsa_exception_fp_ieee_invalid_op 0
		.amdhsa_exception_fp_denorm_src 0
		.amdhsa_exception_fp_ieee_div_zero 0
		.amdhsa_exception_fp_ieee_overflow 0
		.amdhsa_exception_fp_ieee_underflow 0
		.amdhsa_exception_fp_ieee_inexact 0
		.amdhsa_exception_int_div_zero 0
	.end_amdhsa_kernel
	.section	.text._ZL26rocblas_haxpy_mlt_8_kernelILi256EPKDF16_S1_PDF16_EviT0_lT1_llT2_lli,"axG",@progbits,_ZL26rocblas_haxpy_mlt_8_kernelILi256EPKDF16_S1_PDF16_EviT0_lT1_llT2_lli,comdat
.Lfunc_end110:
	.size	_ZL26rocblas_haxpy_mlt_8_kernelILi256EPKDF16_S1_PDF16_EviT0_lT1_llT2_lli, .Lfunc_end110-_ZL26rocblas_haxpy_mlt_8_kernelILi256EPKDF16_S1_PDF16_EviT0_lT1_llT2_lli
                                        ; -- End function
	.set _ZL26rocblas_haxpy_mlt_8_kernelILi256EPKDF16_S1_PDF16_EviT0_lT1_llT2_lli.num_vgpr, 13
	.set _ZL26rocblas_haxpy_mlt_8_kernelILi256EPKDF16_S1_PDF16_EviT0_lT1_llT2_lli.num_agpr, 0
	.set _ZL26rocblas_haxpy_mlt_8_kernelILi256EPKDF16_S1_PDF16_EviT0_lT1_llT2_lli.numbered_sgpr, 24
	.set _ZL26rocblas_haxpy_mlt_8_kernelILi256EPKDF16_S1_PDF16_EviT0_lT1_llT2_lli.num_named_barrier, 0
	.set _ZL26rocblas_haxpy_mlt_8_kernelILi256EPKDF16_S1_PDF16_EviT0_lT1_llT2_lli.private_seg_size, 0
	.set _ZL26rocblas_haxpy_mlt_8_kernelILi256EPKDF16_S1_PDF16_EviT0_lT1_llT2_lli.uses_vcc, 1
	.set _ZL26rocblas_haxpy_mlt_8_kernelILi256EPKDF16_S1_PDF16_EviT0_lT1_llT2_lli.uses_flat_scratch, 0
	.set _ZL26rocblas_haxpy_mlt_8_kernelILi256EPKDF16_S1_PDF16_EviT0_lT1_llT2_lli.has_dyn_sized_stack, 0
	.set _ZL26rocblas_haxpy_mlt_8_kernelILi256EPKDF16_S1_PDF16_EviT0_lT1_llT2_lli.has_recursion, 0
	.set _ZL26rocblas_haxpy_mlt_8_kernelILi256EPKDF16_S1_PDF16_EviT0_lT1_llT2_lli.has_indirect_call, 0
	.section	.AMDGPU.csdata,"",@progbits
; Kernel info:
; codeLenInByte = 308
; TotalNumSgprs: 28
; NumVgprs: 13
; ScratchSize: 0
; MemoryBound: 0
; FloatMode: 240
; IeeeMode: 1
; LDSByteSize: 0 bytes/workgroup (compile time only)
; SGPRBlocks: 3
; VGPRBlocks: 3
; NumSGPRsForWavesPerEU: 28
; NumVGPRsForWavesPerEU: 13
; Occupancy: 10
; WaveLimiterHint : 0
; COMPUTE_PGM_RSRC2:SCRATCH_EN: 0
; COMPUTE_PGM_RSRC2:USER_SGPR: 6
; COMPUTE_PGM_RSRC2:TRAP_HANDLER: 0
; COMPUTE_PGM_RSRC2:TGID_X_EN: 1
; COMPUTE_PGM_RSRC2:TGID_Y_EN: 0
; COMPUTE_PGM_RSRC2:TGID_Z_EN: 1
; COMPUTE_PGM_RSRC2:TIDIG_COMP_CNT: 0
	.section	.text._ZL26rocblas_haxpy_mod_8_kernelILi256EPKDF16_S1_PDF16_EviT0_lT1_llT2_lli,"axG",@progbits,_ZL26rocblas_haxpy_mod_8_kernelILi256EPKDF16_S1_PDF16_EviT0_lT1_llT2_lli,comdat
	.globl	_ZL26rocblas_haxpy_mod_8_kernelILi256EPKDF16_S1_PDF16_EviT0_lT1_llT2_lli ; -- Begin function _ZL26rocblas_haxpy_mod_8_kernelILi256EPKDF16_S1_PDF16_EviT0_lT1_llT2_lli
	.p2align	8
	.type	_ZL26rocblas_haxpy_mod_8_kernelILi256EPKDF16_S1_PDF16_EviT0_lT1_llT2_lli,@function
_ZL26rocblas_haxpy_mod_8_kernelILi256EPKDF16_S1_PDF16_EviT0_lT1_llT2_lli: ; @_ZL26rocblas_haxpy_mod_8_kernelILi256EPKDF16_S1_PDF16_EviT0_lT1_llT2_lli
; %bb.0:
	s_load_dword s0, s[4:5], 0x0
	s_load_dwordx16 s[8:23], s[4:5], 0x8
	v_mov_b32_e32 v1, 0
	v_lshl_or_b32 v0, s6, 8, v0
	s_waitcnt lgkmcnt(0)
	s_ashr_i32 s1, s0, 31
	s_mul_i32 s2, s11, s7
	s_mul_hi_u32 s3, s10, s7
	s_add_i32 s3, s3, s2
	s_mul_i32 s2, s10, s7
	s_lshl_b64 s[2:3], s[2:3], 1
	s_add_u32 s2, s8, s2
	s_addc_u32 s3, s9, s3
	global_load_ushort v2, v1, s[2:3]
	v_cmp_gt_i64_e32 vcc, s[0:1], v[0:1]
	s_waitcnt vmcnt(0)
	v_cmp_neq_f16_e64 s[0:1], 0, v2
	s_and_b64 s[0:1], vcc, s[0:1]
	s_and_saveexec_b64 s[2:3], s[0:1]
	s_cbranch_execz .LBB111_2
; %bb.1:
	s_mul_i32 s0, s17, s7
	s_mul_hi_u32 s1, s16, s7
	s_add_i32 s1, s1, s0
	s_mul_i32 s0, s16, s7
	s_lshl_b64 s[0:1], s[0:1], 1
	s_add_u32 s2, s12, s0
	s_addc_u32 s3, s13, s1
	s_lshl_b64 s[0:1], s[14:15], 1
	s_add_u32 s0, s2, s0
	v_lshlrev_b64 v[0:1], 1, v[0:1]
	s_addc_u32 s1, s3, s1
	v_mov_b32_e32 v4, s1
	v_add_co_u32_e32 v3, vcc, s0, v0
	s_mul_i32 s0, s23, s7
	s_mul_hi_u32 s1, s22, s7
	s_add_i32 s1, s1, s0
	s_mul_i32 s0, s22, s7
	s_lshl_b64 s[0:1], s[0:1], 1
	s_add_u32 s2, s18, s0
	s_addc_u32 s3, s19, s1
	s_lshl_b64 s[0:1], s[20:21], 1
	s_add_u32 s0, s2, s0
	v_addc_co_u32_e32 v4, vcc, v4, v1, vcc
	s_addc_u32 s1, s3, s1
	v_mov_b32_e32 v5, s1
	v_add_co_u32_e32 v0, vcc, s0, v0
	v_addc_co_u32_e32 v1, vcc, v5, v1, vcc
	global_load_ushort v5, v[3:4], off
	global_load_ushort v6, v[0:1], off
	s_waitcnt vmcnt(0)
	v_fma_f16 v2, v2, v5, v6
	global_store_short v[0:1], v2, off
.LBB111_2:
	s_endpgm
	.section	.rodata,"a",@progbits
	.p2align	6, 0x0
	.amdhsa_kernel _ZL26rocblas_haxpy_mod_8_kernelILi256EPKDF16_S1_PDF16_EviT0_lT1_llT2_lli
		.amdhsa_group_segment_fixed_size 0
		.amdhsa_private_segment_fixed_size 0
		.amdhsa_kernarg_size 76
		.amdhsa_user_sgpr_count 6
		.amdhsa_user_sgpr_private_segment_buffer 1
		.amdhsa_user_sgpr_dispatch_ptr 0
		.amdhsa_user_sgpr_queue_ptr 0
		.amdhsa_user_sgpr_kernarg_segment_ptr 1
		.amdhsa_user_sgpr_dispatch_id 0
		.amdhsa_user_sgpr_flat_scratch_init 0
		.amdhsa_user_sgpr_private_segment_size 0
		.amdhsa_uses_dynamic_stack 0
		.amdhsa_system_sgpr_private_segment_wavefront_offset 0
		.amdhsa_system_sgpr_workgroup_id_x 1
		.amdhsa_system_sgpr_workgroup_id_y 0
		.amdhsa_system_sgpr_workgroup_id_z 1
		.amdhsa_system_sgpr_workgroup_info 0
		.amdhsa_system_vgpr_workitem_id 0
		.amdhsa_next_free_vgpr 7
		.amdhsa_next_free_sgpr 24
		.amdhsa_reserve_vcc 1
		.amdhsa_reserve_flat_scratch 0
		.amdhsa_float_round_mode_32 0
		.amdhsa_float_round_mode_16_64 0
		.amdhsa_float_denorm_mode_32 3
		.amdhsa_float_denorm_mode_16_64 3
		.amdhsa_dx10_clamp 1
		.amdhsa_ieee_mode 1
		.amdhsa_fp16_overflow 0
		.amdhsa_exception_fp_ieee_invalid_op 0
		.amdhsa_exception_fp_denorm_src 0
		.amdhsa_exception_fp_ieee_div_zero 0
		.amdhsa_exception_fp_ieee_overflow 0
		.amdhsa_exception_fp_ieee_underflow 0
		.amdhsa_exception_fp_ieee_inexact 0
		.amdhsa_exception_int_div_zero 0
	.end_amdhsa_kernel
	.section	.text._ZL26rocblas_haxpy_mod_8_kernelILi256EPKDF16_S1_PDF16_EviT0_lT1_llT2_lli,"axG",@progbits,_ZL26rocblas_haxpy_mod_8_kernelILi256EPKDF16_S1_PDF16_EviT0_lT1_llT2_lli,comdat
.Lfunc_end111:
	.size	_ZL26rocblas_haxpy_mod_8_kernelILi256EPKDF16_S1_PDF16_EviT0_lT1_llT2_lli, .Lfunc_end111-_ZL26rocblas_haxpy_mod_8_kernelILi256EPKDF16_S1_PDF16_EviT0_lT1_llT2_lli
                                        ; -- End function
	.set _ZL26rocblas_haxpy_mod_8_kernelILi256EPKDF16_S1_PDF16_EviT0_lT1_llT2_lli.num_vgpr, 7
	.set _ZL26rocblas_haxpy_mod_8_kernelILi256EPKDF16_S1_PDF16_EviT0_lT1_llT2_lli.num_agpr, 0
	.set _ZL26rocblas_haxpy_mod_8_kernelILi256EPKDF16_S1_PDF16_EviT0_lT1_llT2_lli.numbered_sgpr, 24
	.set _ZL26rocblas_haxpy_mod_8_kernelILi256EPKDF16_S1_PDF16_EviT0_lT1_llT2_lli.num_named_barrier, 0
	.set _ZL26rocblas_haxpy_mod_8_kernelILi256EPKDF16_S1_PDF16_EviT0_lT1_llT2_lli.private_seg_size, 0
	.set _ZL26rocblas_haxpy_mod_8_kernelILi256EPKDF16_S1_PDF16_EviT0_lT1_llT2_lli.uses_vcc, 1
	.set _ZL26rocblas_haxpy_mod_8_kernelILi256EPKDF16_S1_PDF16_EviT0_lT1_llT2_lli.uses_flat_scratch, 0
	.set _ZL26rocblas_haxpy_mod_8_kernelILi256EPKDF16_S1_PDF16_EviT0_lT1_llT2_lli.has_dyn_sized_stack, 0
	.set _ZL26rocblas_haxpy_mod_8_kernelILi256EPKDF16_S1_PDF16_EviT0_lT1_llT2_lli.has_recursion, 0
	.set _ZL26rocblas_haxpy_mod_8_kernelILi256EPKDF16_S1_PDF16_EviT0_lT1_llT2_lli.has_indirect_call, 0
	.section	.AMDGPU.csdata,"",@progbits
; Kernel info:
; codeLenInByte = 252
; TotalNumSgprs: 28
; NumVgprs: 7
; ScratchSize: 0
; MemoryBound: 0
; FloatMode: 240
; IeeeMode: 1
; LDSByteSize: 0 bytes/workgroup (compile time only)
; SGPRBlocks: 3
; VGPRBlocks: 1
; NumSGPRsForWavesPerEU: 28
; NumVGPRsForWavesPerEU: 7
; Occupancy: 10
; WaveLimiterHint : 0
; COMPUTE_PGM_RSRC2:SCRATCH_EN: 0
; COMPUTE_PGM_RSRC2:USER_SGPR: 6
; COMPUTE_PGM_RSRC2:TRAP_HANDLER: 0
; COMPUTE_PGM_RSRC2:TGID_X_EN: 1
; COMPUTE_PGM_RSRC2:TGID_Y_EN: 0
; COMPUTE_PGM_RSRC2:TGID_Z_EN: 1
; COMPUTE_PGM_RSRC2:TIDIG_COMP_CNT: 0
	.section	.text._ZL26rocblas_haxpy_mlt_8_kernelILi256EDF16_PKDF16_PDF16_EviT0_lT1_llT2_lli,"axG",@progbits,_ZL26rocblas_haxpy_mlt_8_kernelILi256EDF16_PKDF16_PDF16_EviT0_lT1_llT2_lli,comdat
	.globl	_ZL26rocblas_haxpy_mlt_8_kernelILi256EDF16_PKDF16_PDF16_EviT0_lT1_llT2_lli ; -- Begin function _ZL26rocblas_haxpy_mlt_8_kernelILi256EDF16_PKDF16_PDF16_EviT0_lT1_llT2_lli
	.p2align	8
	.type	_ZL26rocblas_haxpy_mlt_8_kernelILi256EDF16_PKDF16_PDF16_EviT0_lT1_llT2_lli,@function
_ZL26rocblas_haxpy_mlt_8_kernelILi256EDF16_PKDF16_PDF16_EviT0_lT1_llT2_lli: ; @_ZL26rocblas_haxpy_mlt_8_kernelILi256EDF16_PKDF16_PDF16_EviT0_lT1_llT2_lli
; %bb.0:
	s_load_dwordx2 s[0:1], s[4:5], 0x0
	s_waitcnt lgkmcnt(0)
	s_pack_ll_b32_b16 s2, s1, s1
	s_and_b32 s2, s2, 0x7fff
	s_cmp_eq_u32 s2, 0
	s_cbranch_scc1 .LBB112_3
; %bb.1:
	v_lshl_or_b32 v0, s6, 8, v0
	v_mov_b32_e32 v1, 0
	v_lshlrev_b64 v[0:1], 3, v[0:1]
	s_ashr_i32 s3, s0, 31
	s_mov_b32 s2, s0
	v_cmp_gt_i64_e32 vcc, s[2:3], v[0:1]
	s_and_saveexec_b64 s[2:3], vcc
	s_cbranch_execz .LBB112_3
; %bb.2:
	s_load_dwordx8 s[8:15], s[4:5], 0x10
	s_load_dwordx4 s[16:19], s[4:5], 0x30
	v_lshlrev_b64 v[0:1], 1, v[0:1]
	s_waitcnt lgkmcnt(0)
	s_mul_i32 s0, s13, s7
	s_mul_hi_u32 s3, s12, s7
	s_mul_i32 s2, s12, s7
	s_add_i32 s3, s3, s0
	s_lshl_b64 s[2:3], s[2:3], 1
	s_add_u32 s0, s8, s2
	s_addc_u32 s4, s9, s3
	s_lshl_b64 s[2:3], s[10:11], 1
	s_add_u32 s0, s0, s2
	s_addc_u32 s2, s4, s3
	v_mov_b32_e32 v2, s2
	v_add_co_u32_e32 v8, vcc, s0, v0
	s_mul_i32 s0, s19, s7
	s_mul_hi_u32 s2, s18, s7
	s_add_i32 s3, s2, s0
	s_mul_i32 s2, s18, s7
	s_lshl_b64 s[2:3], s[2:3], 1
	s_add_u32 s0, s14, s2
	s_addc_u32 s4, s15, s3
	s_lshl_b64 s[2:3], s[16:17], 1
	s_add_u32 s0, s0, s2
	v_addc_co_u32_e32 v9, vcc, v2, v1, vcc
	s_addc_u32 s2, s4, s3
	v_mov_b32_e32 v2, s2
	v_add_co_u32_e32 v10, vcc, s0, v0
	v_addc_co_u32_e32 v11, vcc, v2, v1, vcc
	global_load_dwordx4 v[0:3], v[8:9], off
	global_load_dwordx4 v[4:7], v[10:11], off
	s_waitcnt vmcnt(0)
	v_pk_fma_f16 v3, s1, v3, v7 op_sel_hi:[0,1,1]
	v_pk_fma_f16 v2, s1, v2, v6 op_sel_hi:[0,1,1]
	;; [unrolled: 1-line block ×4, first 2 shown]
	global_store_dwordx4 v[10:11], v[0:3], off
.LBB112_3:
	s_endpgm
	.section	.rodata,"a",@progbits
	.p2align	6, 0x0
	.amdhsa_kernel _ZL26rocblas_haxpy_mlt_8_kernelILi256EDF16_PKDF16_PDF16_EviT0_lT1_llT2_lli
		.amdhsa_group_segment_fixed_size 0
		.amdhsa_private_segment_fixed_size 0
		.amdhsa_kernarg_size 68
		.amdhsa_user_sgpr_count 6
		.amdhsa_user_sgpr_private_segment_buffer 1
		.amdhsa_user_sgpr_dispatch_ptr 0
		.amdhsa_user_sgpr_queue_ptr 0
		.amdhsa_user_sgpr_kernarg_segment_ptr 1
		.amdhsa_user_sgpr_dispatch_id 0
		.amdhsa_user_sgpr_flat_scratch_init 0
		.amdhsa_user_sgpr_private_segment_size 0
		.amdhsa_uses_dynamic_stack 0
		.amdhsa_system_sgpr_private_segment_wavefront_offset 0
		.amdhsa_system_sgpr_workgroup_id_x 1
		.amdhsa_system_sgpr_workgroup_id_y 0
		.amdhsa_system_sgpr_workgroup_id_z 1
		.amdhsa_system_sgpr_workgroup_info 0
		.amdhsa_system_vgpr_workitem_id 0
		.amdhsa_next_free_vgpr 12
		.amdhsa_next_free_sgpr 20
		.amdhsa_reserve_vcc 1
		.amdhsa_reserve_flat_scratch 0
		.amdhsa_float_round_mode_32 0
		.amdhsa_float_round_mode_16_64 0
		.amdhsa_float_denorm_mode_32 3
		.amdhsa_float_denorm_mode_16_64 3
		.amdhsa_dx10_clamp 1
		.amdhsa_ieee_mode 1
		.amdhsa_fp16_overflow 0
		.amdhsa_exception_fp_ieee_invalid_op 0
		.amdhsa_exception_fp_denorm_src 0
		.amdhsa_exception_fp_ieee_div_zero 0
		.amdhsa_exception_fp_ieee_overflow 0
		.amdhsa_exception_fp_ieee_underflow 0
		.amdhsa_exception_fp_ieee_inexact 0
		.amdhsa_exception_int_div_zero 0
	.end_amdhsa_kernel
	.section	.text._ZL26rocblas_haxpy_mlt_8_kernelILi256EDF16_PKDF16_PDF16_EviT0_lT1_llT2_lli,"axG",@progbits,_ZL26rocblas_haxpy_mlt_8_kernelILi256EDF16_PKDF16_PDF16_EviT0_lT1_llT2_lli,comdat
.Lfunc_end112:
	.size	_ZL26rocblas_haxpy_mlt_8_kernelILi256EDF16_PKDF16_PDF16_EviT0_lT1_llT2_lli, .Lfunc_end112-_ZL26rocblas_haxpy_mlt_8_kernelILi256EDF16_PKDF16_PDF16_EviT0_lT1_llT2_lli
                                        ; -- End function
	.set _ZL26rocblas_haxpy_mlt_8_kernelILi256EDF16_PKDF16_PDF16_EviT0_lT1_llT2_lli.num_vgpr, 12
	.set _ZL26rocblas_haxpy_mlt_8_kernelILi256EDF16_PKDF16_PDF16_EviT0_lT1_llT2_lli.num_agpr, 0
	.set _ZL26rocblas_haxpy_mlt_8_kernelILi256EDF16_PKDF16_PDF16_EviT0_lT1_llT2_lli.numbered_sgpr, 20
	.set _ZL26rocblas_haxpy_mlt_8_kernelILi256EDF16_PKDF16_PDF16_EviT0_lT1_llT2_lli.num_named_barrier, 0
	.set _ZL26rocblas_haxpy_mlt_8_kernelILi256EDF16_PKDF16_PDF16_EviT0_lT1_llT2_lli.private_seg_size, 0
	.set _ZL26rocblas_haxpy_mlt_8_kernelILi256EDF16_PKDF16_PDF16_EviT0_lT1_llT2_lli.uses_vcc, 1
	.set _ZL26rocblas_haxpy_mlt_8_kernelILi256EDF16_PKDF16_PDF16_EviT0_lT1_llT2_lli.uses_flat_scratch, 0
	.set _ZL26rocblas_haxpy_mlt_8_kernelILi256EDF16_PKDF16_PDF16_EviT0_lT1_llT2_lli.has_dyn_sized_stack, 0
	.set _ZL26rocblas_haxpy_mlt_8_kernelILi256EDF16_PKDF16_PDF16_EviT0_lT1_llT2_lli.has_recursion, 0
	.set _ZL26rocblas_haxpy_mlt_8_kernelILi256EDF16_PKDF16_PDF16_EviT0_lT1_llT2_lli.has_indirect_call, 0
	.section	.AMDGPU.csdata,"",@progbits
; Kernel info:
; codeLenInByte = 268
; TotalNumSgprs: 24
; NumVgprs: 12
; ScratchSize: 0
; MemoryBound: 0
; FloatMode: 240
; IeeeMode: 1
; LDSByteSize: 0 bytes/workgroup (compile time only)
; SGPRBlocks: 2
; VGPRBlocks: 2
; NumSGPRsForWavesPerEU: 24
; NumVGPRsForWavesPerEU: 12
; Occupancy: 10
; WaveLimiterHint : 0
; COMPUTE_PGM_RSRC2:SCRATCH_EN: 0
; COMPUTE_PGM_RSRC2:USER_SGPR: 6
; COMPUTE_PGM_RSRC2:TRAP_HANDLER: 0
; COMPUTE_PGM_RSRC2:TGID_X_EN: 1
; COMPUTE_PGM_RSRC2:TGID_Y_EN: 0
; COMPUTE_PGM_RSRC2:TGID_Z_EN: 1
; COMPUTE_PGM_RSRC2:TIDIG_COMP_CNT: 0
	.section	.text._ZL26rocblas_haxpy_mod_8_kernelILi256EDF16_PKDF16_PDF16_EviT0_lT1_llT2_lli,"axG",@progbits,_ZL26rocblas_haxpy_mod_8_kernelILi256EDF16_PKDF16_PDF16_EviT0_lT1_llT2_lli,comdat
	.globl	_ZL26rocblas_haxpy_mod_8_kernelILi256EDF16_PKDF16_PDF16_EviT0_lT1_llT2_lli ; -- Begin function _ZL26rocblas_haxpy_mod_8_kernelILi256EDF16_PKDF16_PDF16_EviT0_lT1_llT2_lli
	.p2align	8
	.type	_ZL26rocblas_haxpy_mod_8_kernelILi256EDF16_PKDF16_PDF16_EviT0_lT1_llT2_lli,@function
_ZL26rocblas_haxpy_mod_8_kernelILi256EDF16_PKDF16_PDF16_EviT0_lT1_llT2_lli: ; @_ZL26rocblas_haxpy_mod_8_kernelILi256EDF16_PKDF16_PDF16_EviT0_lT1_llT2_lli
; %bb.0:
	s_load_dwordx2 s[0:1], s[4:5], 0x0
	v_lshl_or_b32 v0, s6, 8, v0
	v_mov_b32_e32 v1, 0
	s_waitcnt lgkmcnt(0)
	s_ashr_i32 s3, s0, 31
	s_mov_b32 s2, s0
	v_cmp_gt_i64_e32 vcc, s[2:3], v[0:1]
	v_cmp_neq_f16_e64 s[2:3], s1, 0
	s_and_b64 s[2:3], s[2:3], vcc
	s_and_saveexec_b64 s[8:9], s[2:3]
	s_cbranch_execz .LBB113_2
; %bb.1:
	s_load_dwordx8 s[8:15], s[4:5], 0x10
	s_load_dwordx4 s[16:19], s[4:5], 0x30
	v_lshlrev_b64 v[0:1], 1, v[0:1]
	s_waitcnt lgkmcnt(0)
	s_mul_i32 s0, s13, s7
	s_mul_hi_u32 s3, s12, s7
	s_mul_i32 s2, s12, s7
	s_add_i32 s3, s3, s0
	s_lshl_b64 s[2:3], s[2:3], 1
	s_add_u32 s0, s8, s2
	s_addc_u32 s4, s9, s3
	s_lshl_b64 s[2:3], s[10:11], 1
	s_add_u32 s0, s0, s2
	s_addc_u32 s2, s4, s3
	v_mov_b32_e32 v3, s2
	v_add_co_u32_e32 v2, vcc, s0, v0
	s_mul_i32 s0, s19, s7
	s_mul_hi_u32 s2, s18, s7
	s_add_i32 s3, s2, s0
	s_mul_i32 s2, s18, s7
	s_lshl_b64 s[2:3], s[2:3], 1
	s_add_u32 s0, s14, s2
	s_addc_u32 s4, s15, s3
	s_lshl_b64 s[2:3], s[16:17], 1
	s_add_u32 s0, s0, s2
	v_addc_co_u32_e32 v3, vcc, v3, v1, vcc
	s_addc_u32 s2, s4, s3
	v_mov_b32_e32 v4, s2
	v_add_co_u32_e32 v0, vcc, s0, v0
	v_addc_co_u32_e32 v1, vcc, v4, v1, vcc
	global_load_ushort v4, v[2:3], off
	global_load_ushort v5, v[0:1], off
	s_waitcnt vmcnt(0)
	v_fma_f16 v2, s1, v4, v5
	global_store_short v[0:1], v2, off
.LBB113_2:
	s_endpgm
	.section	.rodata,"a",@progbits
	.p2align	6, 0x0
	.amdhsa_kernel _ZL26rocblas_haxpy_mod_8_kernelILi256EDF16_PKDF16_PDF16_EviT0_lT1_llT2_lli
		.amdhsa_group_segment_fixed_size 0
		.amdhsa_private_segment_fixed_size 0
		.amdhsa_kernarg_size 68
		.amdhsa_user_sgpr_count 6
		.amdhsa_user_sgpr_private_segment_buffer 1
		.amdhsa_user_sgpr_dispatch_ptr 0
		.amdhsa_user_sgpr_queue_ptr 0
		.amdhsa_user_sgpr_kernarg_segment_ptr 1
		.amdhsa_user_sgpr_dispatch_id 0
		.amdhsa_user_sgpr_flat_scratch_init 0
		.amdhsa_user_sgpr_private_segment_size 0
		.amdhsa_uses_dynamic_stack 0
		.amdhsa_system_sgpr_private_segment_wavefront_offset 0
		.amdhsa_system_sgpr_workgroup_id_x 1
		.amdhsa_system_sgpr_workgroup_id_y 0
		.amdhsa_system_sgpr_workgroup_id_z 1
		.amdhsa_system_sgpr_workgroup_info 0
		.amdhsa_system_vgpr_workitem_id 0
		.amdhsa_next_free_vgpr 6
		.amdhsa_next_free_sgpr 20
		.amdhsa_reserve_vcc 1
		.amdhsa_reserve_flat_scratch 0
		.amdhsa_float_round_mode_32 0
		.amdhsa_float_round_mode_16_64 0
		.amdhsa_float_denorm_mode_32 3
		.amdhsa_float_denorm_mode_16_64 3
		.amdhsa_dx10_clamp 1
		.amdhsa_ieee_mode 1
		.amdhsa_fp16_overflow 0
		.amdhsa_exception_fp_ieee_invalid_op 0
		.amdhsa_exception_fp_denorm_src 0
		.amdhsa_exception_fp_ieee_div_zero 0
		.amdhsa_exception_fp_ieee_overflow 0
		.amdhsa_exception_fp_ieee_underflow 0
		.amdhsa_exception_fp_ieee_inexact 0
		.amdhsa_exception_int_div_zero 0
	.end_amdhsa_kernel
	.section	.text._ZL26rocblas_haxpy_mod_8_kernelILi256EDF16_PKDF16_PDF16_EviT0_lT1_llT2_lli,"axG",@progbits,_ZL26rocblas_haxpy_mod_8_kernelILi256EDF16_PKDF16_PDF16_EviT0_lT1_llT2_lli,comdat
.Lfunc_end113:
	.size	_ZL26rocblas_haxpy_mod_8_kernelILi256EDF16_PKDF16_PDF16_EviT0_lT1_llT2_lli, .Lfunc_end113-_ZL26rocblas_haxpy_mod_8_kernelILi256EDF16_PKDF16_PDF16_EviT0_lT1_llT2_lli
                                        ; -- End function
	.set _ZL26rocblas_haxpy_mod_8_kernelILi256EDF16_PKDF16_PDF16_EviT0_lT1_llT2_lli.num_vgpr, 6
	.set _ZL26rocblas_haxpy_mod_8_kernelILi256EDF16_PKDF16_PDF16_EviT0_lT1_llT2_lli.num_agpr, 0
	.set _ZL26rocblas_haxpy_mod_8_kernelILi256EDF16_PKDF16_PDF16_EviT0_lT1_llT2_lli.numbered_sgpr, 20
	.set _ZL26rocblas_haxpy_mod_8_kernelILi256EDF16_PKDF16_PDF16_EviT0_lT1_llT2_lli.num_named_barrier, 0
	.set _ZL26rocblas_haxpy_mod_8_kernelILi256EDF16_PKDF16_PDF16_EviT0_lT1_llT2_lli.private_seg_size, 0
	.set _ZL26rocblas_haxpy_mod_8_kernelILi256EDF16_PKDF16_PDF16_EviT0_lT1_llT2_lli.uses_vcc, 1
	.set _ZL26rocblas_haxpy_mod_8_kernelILi256EDF16_PKDF16_PDF16_EviT0_lT1_llT2_lli.uses_flat_scratch, 0
	.set _ZL26rocblas_haxpy_mod_8_kernelILi256EDF16_PKDF16_PDF16_EviT0_lT1_llT2_lli.has_dyn_sized_stack, 0
	.set _ZL26rocblas_haxpy_mod_8_kernelILi256EDF16_PKDF16_PDF16_EviT0_lT1_llT2_lli.has_recursion, 0
	.set _ZL26rocblas_haxpy_mod_8_kernelILi256EDF16_PKDF16_PDF16_EviT0_lT1_llT2_lli.has_indirect_call, 0
	.section	.AMDGPU.csdata,"",@progbits
; Kernel info:
; codeLenInByte = 228
; TotalNumSgprs: 24
; NumVgprs: 6
; ScratchSize: 0
; MemoryBound: 0
; FloatMode: 240
; IeeeMode: 1
; LDSByteSize: 0 bytes/workgroup (compile time only)
; SGPRBlocks: 2
; VGPRBlocks: 1
; NumSGPRsForWavesPerEU: 24
; NumVGPRsForWavesPerEU: 6
; Occupancy: 10
; WaveLimiterHint : 0
; COMPUTE_PGM_RSRC2:SCRATCH_EN: 0
; COMPUTE_PGM_RSRC2:USER_SGPR: 6
; COMPUTE_PGM_RSRC2:TRAP_HANDLER: 0
; COMPUTE_PGM_RSRC2:TGID_X_EN: 1
; COMPUTE_PGM_RSRC2:TGID_Y_EN: 0
; COMPUTE_PGM_RSRC2:TGID_Z_EN: 1
; COMPUTE_PGM_RSRC2:TIDIG_COMP_CNT: 0
	.section	.text._ZL22rocblas_saxpy_2_kernelILi256EfPKDF16_S1_PDF16_EviT1_lT2_llT3_lli,"axG",@progbits,_ZL22rocblas_saxpy_2_kernelILi256EfPKDF16_S1_PDF16_EviT1_lT2_llT3_lli,comdat
	.globl	_ZL22rocblas_saxpy_2_kernelILi256EfPKDF16_S1_PDF16_EviT1_lT2_llT3_lli ; -- Begin function _ZL22rocblas_saxpy_2_kernelILi256EfPKDF16_S1_PDF16_EviT1_lT2_llT3_lli
	.p2align	8
	.type	_ZL22rocblas_saxpy_2_kernelILi256EfPKDF16_S1_PDF16_EviT1_lT2_llT3_lli,@function
_ZL22rocblas_saxpy_2_kernelILi256EfPKDF16_S1_PDF16_EviT1_lT2_llT3_lli: ; @_ZL22rocblas_saxpy_2_kernelILi256EfPKDF16_S1_PDF16_EviT1_lT2_llT3_lli
; %bb.0:
	s_load_dwordx4 s[0:3], s[4:5], 0x8
	v_mov_b32_e32 v1, 0
	s_waitcnt lgkmcnt(0)
	s_mul_i32 s3, s3, s7
	s_mul_hi_u32 s8, s2, s7
	s_add_i32 s3, s8, s3
	s_mul_i32 s2, s2, s7
	s_lshl_b64 s[2:3], s[2:3], 1
	s_add_u32 s0, s0, s2
	s_addc_u32 s1, s1, s3
	global_load_ushort v4, v1, s[0:1]
	s_waitcnt vmcnt(0)
	v_cmp_eq_f16_e32 vcc, 0, v4
	s_cbranch_vccnz .LBB114_5
; %bb.1:
	s_load_dwordx2 s[10:11], s[4:5], 0x30
	s_load_dwordx4 s[0:3], s[4:5], 0x20
	s_load_dwordx2 s[16:17], s[4:5], 0x18
	s_load_dword s8, s[4:5], 0x0
	s_load_dwordx4 s[12:15], s[4:5], 0x38
	v_lshlrev_b32_e32 v0, 1, v0
	s_waitcnt lgkmcnt(0)
	s_mul_i32 s3, s3, s7
	s_mul_hi_u32 s4, s2, s7
	s_add_i32 s3, s4, s3
	s_mul_i32 s2, s2, s7
	s_lshl_b64 s[2:3], s[2:3], 1
	s_add_u32 s2, s16, s2
	s_addc_u32 s3, s17, s3
	s_lshl_b64 s[0:1], s[0:1], 1
	s_add_u32 s4, s2, s0
	s_addc_u32 s5, s3, s1
	s_mul_i32 s0, s15, s7
	s_mul_hi_u32 s1, s14, s7
	s_add_i32 s1, s1, s0
	s_mul_i32 s0, s14, s7
	s_lshl_b64 s[0:1], s[0:1], 1
	s_add_u32 s2, s10, s0
	s_addc_u32 s3, s11, s1
	s_lshl_b64 s[0:1], s[12:13], 1
	v_lshl_or_b32 v0, s6, 9, v0
	s_add_u32 s6, s2, s0
	s_addc_u32 s7, s3, s1
	s_add_i32 s0, s8, -1
	s_ashr_i32 s1, s0, 31
	v_cmp_gt_i64_e32 vcc, s[0:1], v[0:1]
	v_lshlrev_b64 v[2:3], 1, v[0:1]
	s_and_saveexec_b64 s[2:3], vcc
	s_cbranch_execz .LBB114_3
; %bb.2:
	v_mov_b32_e32 v6, s7
	v_add_co_u32_e32 v5, vcc, s6, v2
	v_addc_co_u32_e32 v6, vcc, v6, v3, vcc
	v_mov_b32_e32 v8, s5
	v_add_co_u32_e32 v7, vcc, s4, v2
	v_addc_co_u32_e32 v8, vcc, v8, v3, vcc
	global_load_dword v9, v[5:6], off
	global_load_dword v10, v[7:8], off
	s_waitcnt vmcnt(0)
	v_fma_mixlo_f16 v7, v4, v10, v9 op_sel_hi:[1,1,1]
	v_fma_mixhi_f16 v7, v4, v10, v9 op_sel:[0,1,1] op_sel_hi:[1,1,1]
	global_store_dword v[5:6], v7, off
.LBB114_3:
	s_or_b64 exec, exec, s[2:3]
	s_bitcmp1_b32 s8, 0
	v_cmp_eq_u64_e32 vcc, s[0:1], v[0:1]
	s_cselect_b64 s[0:1], -1, 0
	s_and_b64 s[0:1], s[0:1], vcc
	s_and_saveexec_b64 s[2:3], s[0:1]
	s_cbranch_execz .LBB114_5
; %bb.4:
	v_mov_b32_e32 v1, s7
	v_add_co_u32_e32 v0, vcc, s6, v2
	v_addc_co_u32_e32 v1, vcc, v1, v3, vcc
	v_mov_b32_e32 v6, s5
	v_add_co_u32_e32 v2, vcc, s4, v2
	v_addc_co_u32_e32 v3, vcc, v6, v3, vcc
	global_load_ushort v5, v[0:1], off
	s_nop 0
	global_load_ushort v2, v[2:3], off
	s_waitcnt vmcnt(0)
	v_fma_mixlo_f16 v2, v4, v2, v5 op_sel_hi:[1,1,1]
	global_store_short v[0:1], v2, off
.LBB114_5:
	s_endpgm
	.section	.rodata,"a",@progbits
	.p2align	6, 0x0
	.amdhsa_kernel _ZL22rocblas_saxpy_2_kernelILi256EfPKDF16_S1_PDF16_EviT1_lT2_llT3_lli
		.amdhsa_group_segment_fixed_size 0
		.amdhsa_private_segment_fixed_size 0
		.amdhsa_kernarg_size 76
		.amdhsa_user_sgpr_count 6
		.amdhsa_user_sgpr_private_segment_buffer 1
		.amdhsa_user_sgpr_dispatch_ptr 0
		.amdhsa_user_sgpr_queue_ptr 0
		.amdhsa_user_sgpr_kernarg_segment_ptr 1
		.amdhsa_user_sgpr_dispatch_id 0
		.amdhsa_user_sgpr_flat_scratch_init 0
		.amdhsa_user_sgpr_private_segment_size 0
		.amdhsa_uses_dynamic_stack 0
		.amdhsa_system_sgpr_private_segment_wavefront_offset 0
		.amdhsa_system_sgpr_workgroup_id_x 1
		.amdhsa_system_sgpr_workgroup_id_y 0
		.amdhsa_system_sgpr_workgroup_id_z 1
		.amdhsa_system_sgpr_workgroup_info 0
		.amdhsa_system_vgpr_workitem_id 0
		.amdhsa_next_free_vgpr 11
		.amdhsa_next_free_sgpr 18
		.amdhsa_reserve_vcc 1
		.amdhsa_reserve_flat_scratch 0
		.amdhsa_float_round_mode_32 0
		.amdhsa_float_round_mode_16_64 0
		.amdhsa_float_denorm_mode_32 3
		.amdhsa_float_denorm_mode_16_64 3
		.amdhsa_dx10_clamp 1
		.amdhsa_ieee_mode 1
		.amdhsa_fp16_overflow 0
		.amdhsa_exception_fp_ieee_invalid_op 0
		.amdhsa_exception_fp_denorm_src 0
		.amdhsa_exception_fp_ieee_div_zero 0
		.amdhsa_exception_fp_ieee_overflow 0
		.amdhsa_exception_fp_ieee_underflow 0
		.amdhsa_exception_fp_ieee_inexact 0
		.amdhsa_exception_int_div_zero 0
	.end_amdhsa_kernel
	.section	.text._ZL22rocblas_saxpy_2_kernelILi256EfPKDF16_S1_PDF16_EviT1_lT2_llT3_lli,"axG",@progbits,_ZL22rocblas_saxpy_2_kernelILi256EfPKDF16_S1_PDF16_EviT1_lT2_llT3_lli,comdat
.Lfunc_end114:
	.size	_ZL22rocblas_saxpy_2_kernelILi256EfPKDF16_S1_PDF16_EviT1_lT2_llT3_lli, .Lfunc_end114-_ZL22rocblas_saxpy_2_kernelILi256EfPKDF16_S1_PDF16_EviT1_lT2_llT3_lli
                                        ; -- End function
	.set _ZL22rocblas_saxpy_2_kernelILi256EfPKDF16_S1_PDF16_EviT1_lT2_llT3_lli.num_vgpr, 11
	.set _ZL22rocblas_saxpy_2_kernelILi256EfPKDF16_S1_PDF16_EviT1_lT2_llT3_lli.num_agpr, 0
	.set _ZL22rocblas_saxpy_2_kernelILi256EfPKDF16_S1_PDF16_EviT1_lT2_llT3_lli.numbered_sgpr, 18
	.set _ZL22rocblas_saxpy_2_kernelILi256EfPKDF16_S1_PDF16_EviT1_lT2_llT3_lli.num_named_barrier, 0
	.set _ZL22rocblas_saxpy_2_kernelILi256EfPKDF16_S1_PDF16_EviT1_lT2_llT3_lli.private_seg_size, 0
	.set _ZL22rocblas_saxpy_2_kernelILi256EfPKDF16_S1_PDF16_EviT1_lT2_llT3_lli.uses_vcc, 1
	.set _ZL22rocblas_saxpy_2_kernelILi256EfPKDF16_S1_PDF16_EviT1_lT2_llT3_lli.uses_flat_scratch, 0
	.set _ZL22rocblas_saxpy_2_kernelILi256EfPKDF16_S1_PDF16_EviT1_lT2_llT3_lli.has_dyn_sized_stack, 0
	.set _ZL22rocblas_saxpy_2_kernelILi256EfPKDF16_S1_PDF16_EviT1_lT2_llT3_lli.has_recursion, 0
	.set _ZL22rocblas_saxpy_2_kernelILi256EfPKDF16_S1_PDF16_EviT1_lT2_llT3_lli.has_indirect_call, 0
	.section	.AMDGPU.csdata,"",@progbits
; Kernel info:
; codeLenInByte = 392
; TotalNumSgprs: 22
; NumVgprs: 11
; ScratchSize: 0
; MemoryBound: 0
; FloatMode: 240
; IeeeMode: 1
; LDSByteSize: 0 bytes/workgroup (compile time only)
; SGPRBlocks: 2
; VGPRBlocks: 2
; NumSGPRsForWavesPerEU: 22
; NumVGPRsForWavesPerEU: 11
; Occupancy: 10
; WaveLimiterHint : 0
; COMPUTE_PGM_RSRC2:SCRATCH_EN: 0
; COMPUTE_PGM_RSRC2:USER_SGPR: 6
; COMPUTE_PGM_RSRC2:TRAP_HANDLER: 0
; COMPUTE_PGM_RSRC2:TGID_X_EN: 1
; COMPUTE_PGM_RSRC2:TGID_Y_EN: 0
; COMPUTE_PGM_RSRC2:TGID_Z_EN: 1
; COMPUTE_PGM_RSRC2:TIDIG_COMP_CNT: 0
	.section	.text._ZL22rocblas_saxpy_2_kernelILi256EfDF16_PKDF16_PDF16_EviT1_lT2_llT3_lli,"axG",@progbits,_ZL22rocblas_saxpy_2_kernelILi256EfDF16_PKDF16_PDF16_EviT1_lT2_llT3_lli,comdat
	.globl	_ZL22rocblas_saxpy_2_kernelILi256EfDF16_PKDF16_PDF16_EviT1_lT2_llT3_lli ; -- Begin function _ZL22rocblas_saxpy_2_kernelILi256EfDF16_PKDF16_PDF16_EviT1_lT2_llT3_lli
	.p2align	8
	.type	_ZL22rocblas_saxpy_2_kernelILi256EfDF16_PKDF16_PDF16_EviT1_lT2_llT3_lli,@function
_ZL22rocblas_saxpy_2_kernelILi256EfDF16_PKDF16_PDF16_EviT1_lT2_llT3_lli: ; @_ZL22rocblas_saxpy_2_kernelILi256EfDF16_PKDF16_PDF16_EviT1_lT2_llT3_lli
; %bb.0:
	s_load_dwordx2 s[0:1], s[4:5], 0x0
	s_waitcnt lgkmcnt(0)
	v_cmp_eq_f16_e64 s[2:3], s1, 0
	s_and_b64 vcc, exec, s[2:3]
	s_cbranch_vccnz .LBB115_5
; %bb.1:
	s_load_dwordx2 s[2:3], s[4:5], 0x10
	s_load_dwordx4 s[8:11], s[4:5], 0x18
	s_load_dwordx2 s[16:17], s[4:5], 0x28
	s_load_dwordx4 s[12:15], s[4:5], 0x30
	v_lshlrev_b32_e32 v0, 1, v0
	v_lshl_or_b32 v0, s6, 9, v0
	s_waitcnt lgkmcnt(0)
	s_mul_i32 s4, s11, s7
	s_mul_hi_u32 s5, s10, s7
	s_add_i32 s5, s5, s4
	s_mul_i32 s4, s10, s7
	s_lshl_b64 s[4:5], s[4:5], 1
	s_add_u32 s4, s2, s4
	s_addc_u32 s5, s3, s5
	s_lshl_b64 s[2:3], s[8:9], 1
	s_add_u32 s6, s4, s2
	s_addc_u32 s8, s5, s3
	s_mul_i32 s2, s15, s7
	s_mul_hi_u32 s3, s14, s7
	s_add_i32 s3, s3, s2
	s_mul_i32 s2, s14, s7
	s_lshl_b64 s[2:3], s[2:3], 1
	s_add_u32 s4, s16, s2
	s_addc_u32 s5, s17, s3
	s_lshl_b64 s[2:3], s[12:13], 1
	s_add_u32 s7, s4, s2
	s_addc_u32 s9, s5, s3
	s_add_i32 s2, s0, -1
	v_mov_b32_e32 v1, 0
	s_ashr_i32 s3, s2, 31
	v_cmp_gt_i64_e32 vcc, s[2:3], v[0:1]
	v_lshlrev_b64 v[2:3], 1, v[0:1]
	s_and_saveexec_b64 s[4:5], vcc
	s_cbranch_execz .LBB115_3
; %bb.2:
	v_mov_b32_e32 v5, s9
	v_add_co_u32_e32 v4, vcc, s7, v2
	v_addc_co_u32_e32 v5, vcc, v5, v3, vcc
	v_mov_b32_e32 v7, s8
	v_add_co_u32_e32 v6, vcc, s6, v2
	v_addc_co_u32_e32 v7, vcc, v7, v3, vcc
	global_load_dword v8, v[4:5], off
	global_load_dword v9, v[6:7], off
	s_waitcnt vmcnt(0)
	v_fma_mixlo_f16 v6, s1, v9, v8 op_sel_hi:[1,1,1]
	v_fma_mixhi_f16 v6, s1, v9, v8 op_sel:[0,1,1] op_sel_hi:[1,1,1]
	global_store_dword v[4:5], v6, off
.LBB115_3:
	s_or_b64 exec, exec, s[4:5]
	s_bitcmp1_b32 s0, 0
	v_cmp_eq_u64_e32 vcc, s[2:3], v[0:1]
	s_cselect_b64 s[2:3], -1, 0
	s_and_b64 s[2:3], s[2:3], vcc
	s_and_saveexec_b64 s[4:5], s[2:3]
	s_cbranch_execz .LBB115_5
; %bb.4:
	v_mov_b32_e32 v1, s9
	v_add_co_u32_e32 v0, vcc, s7, v2
	v_addc_co_u32_e32 v1, vcc, v1, v3, vcc
	v_mov_b32_e32 v5, s8
	v_add_co_u32_e32 v2, vcc, s6, v2
	v_addc_co_u32_e32 v3, vcc, v5, v3, vcc
	global_load_ushort v4, v[0:1], off
	s_nop 0
	global_load_ushort v2, v[2:3], off
	s_waitcnt vmcnt(0)
	v_fma_mixlo_f16 v2, s1, v2, v4 op_sel_hi:[1,1,1]
	global_store_short v[0:1], v2, off
.LBB115_5:
	s_endpgm
	.section	.rodata,"a",@progbits
	.p2align	6, 0x0
	.amdhsa_kernel _ZL22rocblas_saxpy_2_kernelILi256EfDF16_PKDF16_PDF16_EviT1_lT2_llT3_lli
		.amdhsa_group_segment_fixed_size 0
		.amdhsa_private_segment_fixed_size 0
		.amdhsa_kernarg_size 68
		.amdhsa_user_sgpr_count 6
		.amdhsa_user_sgpr_private_segment_buffer 1
		.amdhsa_user_sgpr_dispatch_ptr 0
		.amdhsa_user_sgpr_queue_ptr 0
		.amdhsa_user_sgpr_kernarg_segment_ptr 1
		.amdhsa_user_sgpr_dispatch_id 0
		.amdhsa_user_sgpr_flat_scratch_init 0
		.amdhsa_user_sgpr_private_segment_size 0
		.amdhsa_uses_dynamic_stack 0
		.amdhsa_system_sgpr_private_segment_wavefront_offset 0
		.amdhsa_system_sgpr_workgroup_id_x 1
		.amdhsa_system_sgpr_workgroup_id_y 0
		.amdhsa_system_sgpr_workgroup_id_z 1
		.amdhsa_system_sgpr_workgroup_info 0
		.amdhsa_system_vgpr_workitem_id 0
		.amdhsa_next_free_vgpr 10
		.amdhsa_next_free_sgpr 18
		.amdhsa_reserve_vcc 1
		.amdhsa_reserve_flat_scratch 0
		.amdhsa_float_round_mode_32 0
		.amdhsa_float_round_mode_16_64 0
		.amdhsa_float_denorm_mode_32 3
		.amdhsa_float_denorm_mode_16_64 3
		.amdhsa_dx10_clamp 1
		.amdhsa_ieee_mode 1
		.amdhsa_fp16_overflow 0
		.amdhsa_exception_fp_ieee_invalid_op 0
		.amdhsa_exception_fp_denorm_src 0
		.amdhsa_exception_fp_ieee_div_zero 0
		.amdhsa_exception_fp_ieee_overflow 0
		.amdhsa_exception_fp_ieee_underflow 0
		.amdhsa_exception_fp_ieee_inexact 0
		.amdhsa_exception_int_div_zero 0
	.end_amdhsa_kernel
	.section	.text._ZL22rocblas_saxpy_2_kernelILi256EfDF16_PKDF16_PDF16_EviT1_lT2_llT3_lli,"axG",@progbits,_ZL22rocblas_saxpy_2_kernelILi256EfDF16_PKDF16_PDF16_EviT1_lT2_llT3_lli,comdat
.Lfunc_end115:
	.size	_ZL22rocblas_saxpy_2_kernelILi256EfDF16_PKDF16_PDF16_EviT1_lT2_llT3_lli, .Lfunc_end115-_ZL22rocblas_saxpy_2_kernelILi256EfDF16_PKDF16_PDF16_EviT1_lT2_llT3_lli
                                        ; -- End function
	.set _ZL22rocblas_saxpy_2_kernelILi256EfDF16_PKDF16_PDF16_EviT1_lT2_llT3_lli.num_vgpr, 10
	.set _ZL22rocblas_saxpy_2_kernelILi256EfDF16_PKDF16_PDF16_EviT1_lT2_llT3_lli.num_agpr, 0
	.set _ZL22rocblas_saxpy_2_kernelILi256EfDF16_PKDF16_PDF16_EviT1_lT2_llT3_lli.numbered_sgpr, 18
	.set _ZL22rocblas_saxpy_2_kernelILi256EfDF16_PKDF16_PDF16_EviT1_lT2_llT3_lli.num_named_barrier, 0
	.set _ZL22rocblas_saxpy_2_kernelILi256EfDF16_PKDF16_PDF16_EviT1_lT2_llT3_lli.private_seg_size, 0
	.set _ZL22rocblas_saxpy_2_kernelILi256EfDF16_PKDF16_PDF16_EviT1_lT2_llT3_lli.uses_vcc, 1
	.set _ZL22rocblas_saxpy_2_kernelILi256EfDF16_PKDF16_PDF16_EviT1_lT2_llT3_lli.uses_flat_scratch, 0
	.set _ZL22rocblas_saxpy_2_kernelILi256EfDF16_PKDF16_PDF16_EviT1_lT2_llT3_lli.has_dyn_sized_stack, 0
	.set _ZL22rocblas_saxpy_2_kernelILi256EfDF16_PKDF16_PDF16_EviT1_lT2_llT3_lli.has_recursion, 0
	.set _ZL22rocblas_saxpy_2_kernelILi256EfDF16_PKDF16_PDF16_EviT1_lT2_llT3_lli.has_indirect_call, 0
	.section	.AMDGPU.csdata,"",@progbits
; Kernel info:
; codeLenInByte = 352
; TotalNumSgprs: 22
; NumVgprs: 10
; ScratchSize: 0
; MemoryBound: 0
; FloatMode: 240
; IeeeMode: 1
; LDSByteSize: 0 bytes/workgroup (compile time only)
; SGPRBlocks: 2
; VGPRBlocks: 2
; NumSGPRsForWavesPerEU: 22
; NumVGPRsForWavesPerEU: 10
; Occupancy: 10
; WaveLimiterHint : 0
; COMPUTE_PGM_RSRC2:SCRATCH_EN: 0
; COMPUTE_PGM_RSRC2:USER_SGPR: 6
; COMPUTE_PGM_RSRC2:TRAP_HANDLER: 0
; COMPUTE_PGM_RSRC2:TGID_X_EN: 1
; COMPUTE_PGM_RSRC2:TGID_Y_EN: 0
; COMPUTE_PGM_RSRC2:TGID_Z_EN: 1
; COMPUTE_PGM_RSRC2:TIDIG_COMP_CNT: 0
	.section	.text._ZL27rocblas_axpy_kernel_batchedIiLi128ELi8EfPKDF16_S1_PDF16_EviT3_lT4_lT_lT5_lS5_li,"axG",@progbits,_ZL27rocblas_axpy_kernel_batchedIiLi128ELi8EfPKDF16_S1_PDF16_EviT3_lT4_lT_lT5_lS5_li,comdat
	.globl	_ZL27rocblas_axpy_kernel_batchedIiLi128ELi8EfPKDF16_S1_PDF16_EviT3_lT4_lT_lT5_lS5_li ; -- Begin function _ZL27rocblas_axpy_kernel_batchedIiLi128ELi8EfPKDF16_S1_PDF16_EviT3_lT4_lT_lT5_lS5_li
	.p2align	8
	.type	_ZL27rocblas_axpy_kernel_batchedIiLi128ELi8EfPKDF16_S1_PDF16_EviT3_lT4_lT_lT5_lS5_li,@function
_ZL27rocblas_axpy_kernel_batchedIiLi128ELi8EfPKDF16_S1_PDF16_EviT3_lT4_lT_lT5_lS5_li: ; @_ZL27rocblas_axpy_kernel_batchedIiLi128ELi8EfPKDF16_S1_PDF16_EviT3_lT4_lT_lT5_lS5_li
; %bb.0:
	s_load_dword s0, s[4:5], 0x0
	v_lshl_add_u32 v2, s6, 7, v0
	v_mov_b32_e32 v3, 0
	s_waitcnt lgkmcnt(0)
	s_ashr_i32 s1, s0, 31
	v_cmp_gt_i64_e32 vcc, s[0:1], v[2:3]
	s_and_saveexec_b64 s[0:1], vcc
	s_cbranch_execz .LBB116_13
; %bb.1:
	s_load_dword s20, s[4:5], 0x28
	s_load_dwordx8 s[8:15], s[4:5], 0x8
	s_load_dwordx4 s[0:3], s[4:5], 0x30
	s_load_dwordx2 s[18:19], s[4:5], 0x40
	s_load_dword s22, s[4:5], 0x48
	s_load_dwordx2 s[16:17], s[4:5], 0x50
	s_load_dword s6, s[4:5], 0x58
	s_waitcnt lgkmcnt(0)
	v_mad_u64_u32 v[5:6], s[4:5], s20, v2, 0
	v_mad_u64_u32 v[7:8], s[4:5], s22, v2, 0
	s_ashr_i32 s21, s20, 31
	v_mov_b32_e32 v0, v6
	v_mad_u64_u32 v[3:4], s[4:5], s21, v2, v[0:1]
	s_ashr_i32 s20, s22, 31
	v_mov_b32_e32 v0, v8
	v_mad_u64_u32 v[8:9], s[4:5], s20, v2, v[0:1]
	v_lshlrev_b32_e32 v0, 2, v1
	v_mov_b32_e32 v6, v3
	s_lshl_b64 s[4:5], s[14:15], 1
	v_lshl_add_u32 v4, s7, 5, v0
	s_add_u32 s4, s12, s4
	v_lshlrev_b64 v[0:1], 1, v[5:6]
	s_addc_u32 s5, s13, s5
	v_mov_b32_e32 v2, s5
	v_add_co_u32_e32 v0, vcc, s4, v0
	s_lshl_b64 s[4:5], s[18:19], 1
	v_addc_co_u32_e32 v1, vcc, v2, v1, vcc
	s_add_u32 s2, s2, s4
	v_lshlrev_b64 v[2:3], 1, v[7:8]
	s_addc_u32 s3, s3, s5
	v_mov_b32_e32 v5, s3
	v_add_co_u32_e32 v2, vcc, s2, v2
	v_addc_co_u32_e32 v3, vcc, v5, v3, vcc
	v_cmp_gt_u32_e32 vcc, s6, v4
	s_and_saveexec_b64 s[2:3], vcc
	s_cbranch_execz .LBB116_4
; %bb.2:
	v_mad_u64_u32 v[5:6], s[4:5], s10, v4, 0
	v_mad_u64_u32 v[6:7], s[4:5], s11, v4, v[6:7]
	v_mov_b32_e32 v7, s9
	v_lshlrev_b64 v[5:6], 1, v[5:6]
	v_add_co_u32_e32 v5, vcc, s8, v5
	v_addc_co_u32_e32 v6, vcc, v7, v6, vcc
	global_load_ushort v5, v[5:6], off
	s_waitcnt vmcnt(0)
	v_cmp_neq_f16_e32 vcc, 0, v5
	s_and_b64 exec, exec, vcc
	s_cbranch_execz .LBB116_4
; %bb.3:
	v_mad_u64_u32 v[6:7], s[4:5], s0, v4, 0
	v_mad_u64_u32 v[8:9], s[4:5], s16, v4, 0
	v_mad_u64_u32 v[10:11], s[4:5], s1, v4, v[7:8]
	v_mov_b32_e32 v7, v10
	v_mad_u64_u32 v[9:10], s[4:5], s17, v4, v[9:10]
	v_lshlrev_b64 v[6:7], 1, v[6:7]
	v_add_co_u32_e32 v6, vcc, v0, v6
	v_lshlrev_b64 v[8:9], 1, v[8:9]
	v_addc_co_u32_e32 v7, vcc, v1, v7, vcc
	v_add_co_u32_e32 v8, vcc, v2, v8
	v_addc_co_u32_e32 v9, vcc, v3, v9, vcc
	global_load_ushort v10, v[8:9], off
	global_load_ushort v11, v[6:7], off
	s_waitcnt vmcnt(0)
	v_fma_mixlo_f16 v5, v5, v11, v10 op_sel_hi:[1,1,1]
	global_store_short v[8:9], v5, off
.LBB116_4:
	s_or_b64 exec, exec, s[2:3]
	v_or_b32_e32 v5, 1, v4
	v_cmp_gt_u32_e32 vcc, s6, v5
	s_and_saveexec_b64 s[2:3], vcc
	s_cbranch_execz .LBB116_7
; %bb.5:
	v_mad_u64_u32 v[6:7], s[4:5], s10, v5, 0
	v_mad_u64_u32 v[7:8], s[4:5], s11, v5, v[7:8]
	v_mov_b32_e32 v8, s9
	v_lshlrev_b64 v[6:7], 1, v[6:7]
	v_add_co_u32_e32 v6, vcc, s8, v6
	v_addc_co_u32_e32 v7, vcc, v8, v7, vcc
	global_load_ushort v6, v[6:7], off
	s_waitcnt vmcnt(0)
	v_cmp_neq_f16_e32 vcc, 0, v6
	s_and_b64 exec, exec, vcc
	s_cbranch_execz .LBB116_7
; %bb.6:
	v_mad_u64_u32 v[7:8], s[4:5], s0, v5, 0
	v_mad_u64_u32 v[9:10], s[4:5], s16, v5, 0
	v_mad_u64_u32 v[11:12], s[4:5], s1, v5, v[8:9]
	v_mov_b32_e32 v8, v11
	v_mad_u64_u32 v[10:11], s[4:5], s17, v5, v[10:11]
	v_lshlrev_b64 v[7:8], 1, v[7:8]
	v_add_co_u32_e32 v7, vcc, v0, v7
	v_lshlrev_b64 v[9:10], 1, v[9:10]
	v_addc_co_u32_e32 v8, vcc, v1, v8, vcc
	v_add_co_u32_e32 v9, vcc, v2, v9
	v_addc_co_u32_e32 v10, vcc, v3, v10, vcc
	global_load_ushort v5, v[9:10], off
	global_load_ushort v11, v[7:8], off
	s_waitcnt vmcnt(0)
	v_fma_mixlo_f16 v5, v6, v11, v5 op_sel_hi:[1,1,1]
	global_store_short v[9:10], v5, off
.LBB116_7:
	s_or_b64 exec, exec, s[2:3]
	v_or_b32_e32 v5, 2, v4
	;; [unrolled: 35-line block ×3, first 2 shown]
	v_cmp_gt_u32_e32 vcc, s6, v4
	s_and_b64 exec, exec, vcc
	s_cbranch_execz .LBB116_13
; %bb.11:
	v_mad_u64_u32 v[5:6], s[2:3], s10, v4, 0
	v_mad_u64_u32 v[6:7], s[2:3], s11, v4, v[6:7]
	v_mov_b32_e32 v7, s9
	v_lshlrev_b64 v[5:6], 1, v[5:6]
	v_add_co_u32_e32 v5, vcc, s8, v5
	v_addc_co_u32_e32 v6, vcc, v7, v6, vcc
	global_load_ushort v5, v[5:6], off
	s_waitcnt vmcnt(0)
	v_cmp_neq_f16_e32 vcc, 0, v5
	s_and_b64 exec, exec, vcc
	s_cbranch_execz .LBB116_13
; %bb.12:
	v_mad_u64_u32 v[6:7], s[2:3], s0, v4, 0
	v_mad_u64_u32 v[8:9], s[2:3], s16, v4, 0
	;; [unrolled: 1-line block ×3, first 2 shown]
	v_mov_b32_e32 v7, v10
	v_mad_u64_u32 v[9:10], s[0:1], s17, v4, v[9:10]
	v_lshlrev_b64 v[6:7], 1, v[6:7]
	v_add_co_u32_e32 v0, vcc, v0, v6
	v_addc_co_u32_e32 v1, vcc, v1, v7, vcc
	v_lshlrev_b64 v[6:7], 1, v[8:9]
	v_add_co_u32_e32 v2, vcc, v2, v6
	v_addc_co_u32_e32 v3, vcc, v3, v7, vcc
	global_load_ushort v4, v[2:3], off
	global_load_ushort v6, v[0:1], off
	s_waitcnt vmcnt(0)
	v_fma_mixlo_f16 v0, v5, v6, v4 op_sel_hi:[1,1,1]
	global_store_short v[2:3], v0, off
.LBB116_13:
	s_endpgm
	.section	.rodata,"a",@progbits
	.p2align	6, 0x0
	.amdhsa_kernel _ZL27rocblas_axpy_kernel_batchedIiLi128ELi8EfPKDF16_S1_PDF16_EviT3_lT4_lT_lT5_lS5_li
		.amdhsa_group_segment_fixed_size 0
		.amdhsa_private_segment_fixed_size 0
		.amdhsa_kernarg_size 92
		.amdhsa_user_sgpr_count 6
		.amdhsa_user_sgpr_private_segment_buffer 1
		.amdhsa_user_sgpr_dispatch_ptr 0
		.amdhsa_user_sgpr_queue_ptr 0
		.amdhsa_user_sgpr_kernarg_segment_ptr 1
		.amdhsa_user_sgpr_dispatch_id 0
		.amdhsa_user_sgpr_flat_scratch_init 0
		.amdhsa_user_sgpr_private_segment_size 0
		.amdhsa_uses_dynamic_stack 0
		.amdhsa_system_sgpr_private_segment_wavefront_offset 0
		.amdhsa_system_sgpr_workgroup_id_x 1
		.amdhsa_system_sgpr_workgroup_id_y 0
		.amdhsa_system_sgpr_workgroup_id_z 1
		.amdhsa_system_sgpr_workgroup_info 0
		.amdhsa_system_vgpr_workitem_id 1
		.amdhsa_next_free_vgpr 13
		.amdhsa_next_free_sgpr 23
		.amdhsa_reserve_vcc 1
		.amdhsa_reserve_flat_scratch 0
		.amdhsa_float_round_mode_32 0
		.amdhsa_float_round_mode_16_64 0
		.amdhsa_float_denorm_mode_32 3
		.amdhsa_float_denorm_mode_16_64 3
		.amdhsa_dx10_clamp 1
		.amdhsa_ieee_mode 1
		.amdhsa_fp16_overflow 0
		.amdhsa_exception_fp_ieee_invalid_op 0
		.amdhsa_exception_fp_denorm_src 0
		.amdhsa_exception_fp_ieee_div_zero 0
		.amdhsa_exception_fp_ieee_overflow 0
		.amdhsa_exception_fp_ieee_underflow 0
		.amdhsa_exception_fp_ieee_inexact 0
		.amdhsa_exception_int_div_zero 0
	.end_amdhsa_kernel
	.section	.text._ZL27rocblas_axpy_kernel_batchedIiLi128ELi8EfPKDF16_S1_PDF16_EviT3_lT4_lT_lT5_lS5_li,"axG",@progbits,_ZL27rocblas_axpy_kernel_batchedIiLi128ELi8EfPKDF16_S1_PDF16_EviT3_lT4_lT_lT5_lS5_li,comdat
.Lfunc_end116:
	.size	_ZL27rocblas_axpy_kernel_batchedIiLi128ELi8EfPKDF16_S1_PDF16_EviT3_lT4_lT_lT5_lS5_li, .Lfunc_end116-_ZL27rocblas_axpy_kernel_batchedIiLi128ELi8EfPKDF16_S1_PDF16_EviT3_lT4_lT_lT5_lS5_li
                                        ; -- End function
	.set _ZL27rocblas_axpy_kernel_batchedIiLi128ELi8EfPKDF16_S1_PDF16_EviT3_lT4_lT_lT5_lS5_li.num_vgpr, 13
	.set _ZL27rocblas_axpy_kernel_batchedIiLi128ELi8EfPKDF16_S1_PDF16_EviT3_lT4_lT_lT5_lS5_li.num_agpr, 0
	.set _ZL27rocblas_axpy_kernel_batchedIiLi128ELi8EfPKDF16_S1_PDF16_EviT3_lT4_lT_lT5_lS5_li.numbered_sgpr, 23
	.set _ZL27rocblas_axpy_kernel_batchedIiLi128ELi8EfPKDF16_S1_PDF16_EviT3_lT4_lT_lT5_lS5_li.num_named_barrier, 0
	.set _ZL27rocblas_axpy_kernel_batchedIiLi128ELi8EfPKDF16_S1_PDF16_EviT3_lT4_lT_lT5_lS5_li.private_seg_size, 0
	.set _ZL27rocblas_axpy_kernel_batchedIiLi128ELi8EfPKDF16_S1_PDF16_EviT3_lT4_lT_lT5_lS5_li.uses_vcc, 1
	.set _ZL27rocblas_axpy_kernel_batchedIiLi128ELi8EfPKDF16_S1_PDF16_EviT3_lT4_lT_lT5_lS5_li.uses_flat_scratch, 0
	.set _ZL27rocblas_axpy_kernel_batchedIiLi128ELi8EfPKDF16_S1_PDF16_EviT3_lT4_lT_lT5_lS5_li.has_dyn_sized_stack, 0
	.set _ZL27rocblas_axpy_kernel_batchedIiLi128ELi8EfPKDF16_S1_PDF16_EviT3_lT4_lT_lT5_lS5_li.has_recursion, 0
	.set _ZL27rocblas_axpy_kernel_batchedIiLi128ELi8EfPKDF16_S1_PDF16_EviT3_lT4_lT_lT5_lS5_li.has_indirect_call, 0
	.section	.AMDGPU.csdata,"",@progbits
; Kernel info:
; codeLenInByte = 960
; TotalNumSgprs: 27
; NumVgprs: 13
; ScratchSize: 0
; MemoryBound: 0
; FloatMode: 240
; IeeeMode: 1
; LDSByteSize: 0 bytes/workgroup (compile time only)
; SGPRBlocks: 3
; VGPRBlocks: 3
; NumSGPRsForWavesPerEU: 27
; NumVGPRsForWavesPerEU: 13
; Occupancy: 10
; WaveLimiterHint : 0
; COMPUTE_PGM_RSRC2:SCRATCH_EN: 0
; COMPUTE_PGM_RSRC2:USER_SGPR: 6
; COMPUTE_PGM_RSRC2:TRAP_HANDLER: 0
; COMPUTE_PGM_RSRC2:TGID_X_EN: 1
; COMPUTE_PGM_RSRC2:TGID_Y_EN: 0
; COMPUTE_PGM_RSRC2:TGID_Z_EN: 1
; COMPUTE_PGM_RSRC2:TIDIG_COMP_CNT: 1
	.section	.text._ZL27rocblas_axpy_kernel_batchedIiLi128ELi8EfDF16_PKDF16_PDF16_EviT3_lT4_lT_lT5_lS5_li,"axG",@progbits,_ZL27rocblas_axpy_kernel_batchedIiLi128ELi8EfDF16_PKDF16_PDF16_EviT3_lT4_lT_lT5_lS5_li,comdat
	.globl	_ZL27rocblas_axpy_kernel_batchedIiLi128ELi8EfDF16_PKDF16_PDF16_EviT3_lT4_lT_lT5_lS5_li ; -- Begin function _ZL27rocblas_axpy_kernel_batchedIiLi128ELi8EfDF16_PKDF16_PDF16_EviT3_lT4_lT_lT5_lS5_li
	.p2align	8
	.type	_ZL27rocblas_axpy_kernel_batchedIiLi128ELi8EfDF16_PKDF16_PDF16_EviT3_lT4_lT_lT5_lS5_li,@function
_ZL27rocblas_axpy_kernel_batchedIiLi128ELi8EfDF16_PKDF16_PDF16_EviT3_lT4_lT_lT5_lS5_li: ; @_ZL27rocblas_axpy_kernel_batchedIiLi128ELi8EfDF16_PKDF16_PDF16_EviT3_lT4_lT_lT5_lS5_li
; %bb.0:
	s_load_dwordx2 s[10:11], s[4:5], 0x0
	v_lshl_add_u32 v2, s6, 7, v0
	v_mov_b32_e32 v3, 0
	s_waitcnt lgkmcnt(0)
	s_ashr_i32 s1, s10, 31
	s_mov_b32 s0, s10
	v_cmp_gt_i64_e32 vcc, s[0:1], v[2:3]
	s_and_saveexec_b64 s[0:1], vcc
	s_cbranch_execz .LBB117_9
; %bb.1:
	s_load_dword s10, s[4:5], 0x20
	s_load_dwordx4 s[12:15], s[4:5], 0x10
	s_load_dwordx4 s[0:3], s[4:5], 0x28
	s_load_dwordx2 s[16:17], s[4:5], 0x38
	s_load_dword s19, s[4:5], 0x40
	s_load_dwordx2 s[8:9], s[4:5], 0x48
	s_load_dword s6, s[4:5], 0x50
	s_waitcnt lgkmcnt(0)
	v_mad_u64_u32 v[3:4], s[4:5], s10, v2, 0
	v_mad_u64_u32 v[6:7], s[4:5], s19, v2, 0
	s_ashr_i32 s18, s10, 31
	v_mov_b32_e32 v0, v4
	v_mad_u64_u32 v[4:5], s[4:5], s18, v2, v[0:1]
	s_ashr_i32 s10, s19, 31
	v_mov_b32_e32 v0, v7
	v_mad_u64_u32 v[7:8], s[4:5], s10, v2, v[0:1]
	v_lshlrev_b32_e32 v0, 2, v1
	s_lshl_b64 s[14:15], s[14:15], 1
	v_lshl_add_u32 v5, s7, 5, v0
	s_add_u32 s7, s12, s14
	v_lshlrev_b64 v[1:2], 1, v[3:4]
	s_addc_u32 s10, s13, s15
	s_lshl_b64 s[12:13], s[16:17], 1
	v_mov_b32_e32 v0, s10
	v_add_co_u32_e32 v1, vcc, s7, v1
	s_add_u32 s2, s2, s12
	v_lshlrev_b64 v[3:4], 1, v[6:7]
	v_addc_co_u32_e32 v2, vcc, v0, v2, vcc
	s_addc_u32 s3, s3, s13
	v_mov_b32_e32 v6, s3
	v_cvt_f32_f16_e32 v0, s11
	v_add_co_u32_e32 v3, vcc, s2, v3
	v_addc_co_u32_e32 v4, vcc, v6, v4, vcc
	v_cmp_neq_f16_e64 s[4:5], s11, 0
	v_cmp_gt_u32_e32 vcc, s6, v5
	s_and_b64 s[10:11], s[4:5], vcc
	s_and_saveexec_b64 s[2:3], s[10:11]
	s_cbranch_execz .LBB117_3
; %bb.2:
	v_mad_u64_u32 v[6:7], s[10:11], s0, v5, 0
	v_mad_u64_u32 v[8:9], s[10:11], s8, v5, 0
	;; [unrolled: 1-line block ×3, first 2 shown]
	v_mov_b32_e32 v7, v10
	v_mad_u64_u32 v[9:10], s[10:11], s9, v5, v[9:10]
	v_lshlrev_b64 v[6:7], 1, v[6:7]
	v_add_co_u32_e32 v6, vcc, v1, v6
	v_lshlrev_b64 v[8:9], 1, v[8:9]
	v_addc_co_u32_e32 v7, vcc, v2, v7, vcc
	v_add_co_u32_e32 v8, vcc, v3, v8
	v_addc_co_u32_e32 v9, vcc, v4, v9, vcc
	global_load_ushort v10, v[8:9], off
	global_load_ushort v11, v[6:7], off
	s_waitcnt vmcnt(0)
	v_fma_mixlo_f16 v6, v0, v11, v10 op_sel_hi:[0,1,1]
	global_store_short v[8:9], v6, off
.LBB117_3:
	s_or_b64 exec, exec, s[2:3]
	v_or_b32_e32 v6, 1, v5
	v_cmp_gt_u32_e32 vcc, s6, v6
	s_and_b64 s[10:11], s[4:5], vcc
	s_and_saveexec_b64 s[2:3], s[10:11]
	s_cbranch_execz .LBB117_5
; %bb.4:
	v_mad_u64_u32 v[7:8], s[10:11], s0, v6, 0
	v_mad_u64_u32 v[9:10], s[10:11], s8, v6, 0
	;; [unrolled: 1-line block ×3, first 2 shown]
	v_mov_b32_e32 v8, v11
	v_mad_u64_u32 v[10:11], s[10:11], s9, v6, v[10:11]
	v_lshlrev_b64 v[7:8], 1, v[7:8]
	v_add_co_u32_e32 v6, vcc, v1, v7
	v_addc_co_u32_e32 v7, vcc, v2, v8, vcc
	v_lshlrev_b64 v[8:9], 1, v[9:10]
	v_add_co_u32_e32 v8, vcc, v3, v8
	v_addc_co_u32_e32 v9, vcc, v4, v9, vcc
	global_load_ushort v10, v[8:9], off
	global_load_ushort v11, v[6:7], off
	s_waitcnt vmcnt(0)
	v_fma_mixlo_f16 v6, v0, v11, v10 op_sel_hi:[0,1,1]
	global_store_short v[8:9], v6, off
.LBB117_5:
	s_or_b64 exec, exec, s[2:3]
	v_or_b32_e32 v6, 2, v5
	v_cmp_gt_u32_e32 vcc, s6, v6
	s_and_b64 s[10:11], s[4:5], vcc
	s_and_saveexec_b64 s[2:3], s[10:11]
	s_cbranch_execz .LBB117_7
; %bb.6:
	v_mad_u64_u32 v[7:8], s[10:11], s0, v6, 0
	v_mad_u64_u32 v[9:10], s[10:11], s8, v6, 0
	;; [unrolled: 1-line block ×3, first 2 shown]
	v_mov_b32_e32 v8, v11
	v_mad_u64_u32 v[10:11], s[10:11], s9, v6, v[10:11]
	v_lshlrev_b64 v[7:8], 1, v[7:8]
	v_add_co_u32_e32 v6, vcc, v1, v7
	v_addc_co_u32_e32 v7, vcc, v2, v8, vcc
	v_lshlrev_b64 v[8:9], 1, v[9:10]
	v_add_co_u32_e32 v8, vcc, v3, v8
	v_addc_co_u32_e32 v9, vcc, v4, v9, vcc
	global_load_ushort v10, v[8:9], off
	global_load_ushort v11, v[6:7], off
	s_waitcnt vmcnt(0)
	v_fma_mixlo_f16 v6, v0, v11, v10 op_sel_hi:[0,1,1]
	global_store_short v[8:9], v6, off
.LBB117_7:
	s_or_b64 exec, exec, s[2:3]
	v_or_b32_e32 v5, 3, v5
	v_cmp_gt_u32_e32 vcc, s6, v5
	s_and_b64 s[2:3], s[4:5], vcc
	s_and_b64 exec, exec, s[2:3]
	s_cbranch_execz .LBB117_9
; %bb.8:
	v_mad_u64_u32 v[6:7], s[2:3], s0, v5, 0
	v_mad_u64_u32 v[8:9], s[2:3], s8, v5, 0
	;; [unrolled: 1-line block ×3, first 2 shown]
	v_mov_b32_e32 v7, v10
	v_mad_u64_u32 v[9:10], s[0:1], s9, v5, v[9:10]
	v_lshlrev_b64 v[6:7], 1, v[6:7]
	v_add_co_u32_e32 v1, vcc, v1, v6
	v_lshlrev_b64 v[5:6], 1, v[8:9]
	v_addc_co_u32_e32 v2, vcc, v2, v7, vcc
	v_add_co_u32_e32 v3, vcc, v3, v5
	v_addc_co_u32_e32 v4, vcc, v4, v6, vcc
	global_load_ushort v5, v[3:4], off
	global_load_ushort v6, v[1:2], off
	s_waitcnt vmcnt(0)
	v_fma_mixlo_f16 v0, v0, v6, v5 op_sel_hi:[0,1,1]
	global_store_short v[3:4], v0, off
.LBB117_9:
	s_endpgm
	.section	.rodata,"a",@progbits
	.p2align	6, 0x0
	.amdhsa_kernel _ZL27rocblas_axpy_kernel_batchedIiLi128ELi8EfDF16_PKDF16_PDF16_EviT3_lT4_lT_lT5_lS5_li
		.amdhsa_group_segment_fixed_size 0
		.amdhsa_private_segment_fixed_size 0
		.amdhsa_kernarg_size 84
		.amdhsa_user_sgpr_count 6
		.amdhsa_user_sgpr_private_segment_buffer 1
		.amdhsa_user_sgpr_dispatch_ptr 0
		.amdhsa_user_sgpr_queue_ptr 0
		.amdhsa_user_sgpr_kernarg_segment_ptr 1
		.amdhsa_user_sgpr_dispatch_id 0
		.amdhsa_user_sgpr_flat_scratch_init 0
		.amdhsa_user_sgpr_private_segment_size 0
		.amdhsa_uses_dynamic_stack 0
		.amdhsa_system_sgpr_private_segment_wavefront_offset 0
		.amdhsa_system_sgpr_workgroup_id_x 1
		.amdhsa_system_sgpr_workgroup_id_y 0
		.amdhsa_system_sgpr_workgroup_id_z 1
		.amdhsa_system_sgpr_workgroup_info 0
		.amdhsa_system_vgpr_workitem_id 1
		.amdhsa_next_free_vgpr 13
		.amdhsa_next_free_sgpr 20
		.amdhsa_reserve_vcc 1
		.amdhsa_reserve_flat_scratch 0
		.amdhsa_float_round_mode_32 0
		.amdhsa_float_round_mode_16_64 0
		.amdhsa_float_denorm_mode_32 3
		.amdhsa_float_denorm_mode_16_64 3
		.amdhsa_dx10_clamp 1
		.amdhsa_ieee_mode 1
		.amdhsa_fp16_overflow 0
		.amdhsa_exception_fp_ieee_invalid_op 0
		.amdhsa_exception_fp_denorm_src 0
		.amdhsa_exception_fp_ieee_div_zero 0
		.amdhsa_exception_fp_ieee_overflow 0
		.amdhsa_exception_fp_ieee_underflow 0
		.amdhsa_exception_fp_ieee_inexact 0
		.amdhsa_exception_int_div_zero 0
	.end_amdhsa_kernel
	.section	.text._ZL27rocblas_axpy_kernel_batchedIiLi128ELi8EfDF16_PKDF16_PDF16_EviT3_lT4_lT_lT5_lS5_li,"axG",@progbits,_ZL27rocblas_axpy_kernel_batchedIiLi128ELi8EfDF16_PKDF16_PDF16_EviT3_lT4_lT_lT5_lS5_li,comdat
.Lfunc_end117:
	.size	_ZL27rocblas_axpy_kernel_batchedIiLi128ELi8EfDF16_PKDF16_PDF16_EviT3_lT4_lT_lT5_lS5_li, .Lfunc_end117-_ZL27rocblas_axpy_kernel_batchedIiLi128ELi8EfDF16_PKDF16_PDF16_EviT3_lT4_lT_lT5_lS5_li
                                        ; -- End function
	.set _ZL27rocblas_axpy_kernel_batchedIiLi128ELi8EfDF16_PKDF16_PDF16_EviT3_lT4_lT_lT5_lS5_li.num_vgpr, 13
	.set _ZL27rocblas_axpy_kernel_batchedIiLi128ELi8EfDF16_PKDF16_PDF16_EviT3_lT4_lT_lT5_lS5_li.num_agpr, 0
	.set _ZL27rocblas_axpy_kernel_batchedIiLi128ELi8EfDF16_PKDF16_PDF16_EviT3_lT4_lT_lT5_lS5_li.numbered_sgpr, 20
	.set _ZL27rocblas_axpy_kernel_batchedIiLi128ELi8EfDF16_PKDF16_PDF16_EviT3_lT4_lT_lT5_lS5_li.num_named_barrier, 0
	.set _ZL27rocblas_axpy_kernel_batchedIiLi128ELi8EfDF16_PKDF16_PDF16_EviT3_lT4_lT_lT5_lS5_li.private_seg_size, 0
	.set _ZL27rocblas_axpy_kernel_batchedIiLi128ELi8EfDF16_PKDF16_PDF16_EviT3_lT4_lT_lT5_lS5_li.uses_vcc, 1
	.set _ZL27rocblas_axpy_kernel_batchedIiLi128ELi8EfDF16_PKDF16_PDF16_EviT3_lT4_lT_lT5_lS5_li.uses_flat_scratch, 0
	.set _ZL27rocblas_axpy_kernel_batchedIiLi128ELi8EfDF16_PKDF16_PDF16_EviT3_lT4_lT_lT5_lS5_li.has_dyn_sized_stack, 0
	.set _ZL27rocblas_axpy_kernel_batchedIiLi128ELi8EfDF16_PKDF16_PDF16_EviT3_lT4_lT_lT5_lS5_li.has_recursion, 0
	.set _ZL27rocblas_axpy_kernel_batchedIiLi128ELi8EfDF16_PKDF16_PDF16_EviT3_lT4_lT_lT5_lS5_li.has_indirect_call, 0
	.section	.AMDGPU.csdata,"",@progbits
; Kernel info:
; codeLenInByte = 748
; TotalNumSgprs: 24
; NumVgprs: 13
; ScratchSize: 0
; MemoryBound: 0
; FloatMode: 240
; IeeeMode: 1
; LDSByteSize: 0 bytes/workgroup (compile time only)
; SGPRBlocks: 2
; VGPRBlocks: 3
; NumSGPRsForWavesPerEU: 24
; NumVGPRsForWavesPerEU: 13
; Occupancy: 10
; WaveLimiterHint : 0
; COMPUTE_PGM_RSRC2:SCRATCH_EN: 0
; COMPUTE_PGM_RSRC2:USER_SGPR: 6
; COMPUTE_PGM_RSRC2:TRAP_HANDLER: 0
; COMPUTE_PGM_RSRC2:TGID_X_EN: 1
; COMPUTE_PGM_RSRC2:TGID_Y_EN: 0
; COMPUTE_PGM_RSRC2:TGID_Z_EN: 1
; COMPUTE_PGM_RSRC2:TIDIG_COMP_CNT: 1
	.section	.text._ZL19rocblas_axpy_kernelIiLi256EfPKDF16_S1_PDF16_EviT2_lT3_lT_lT4_lS5_li,"axG",@progbits,_ZL19rocblas_axpy_kernelIiLi256EfPKDF16_S1_PDF16_EviT2_lT3_lT_lT4_lS5_li,comdat
	.globl	_ZL19rocblas_axpy_kernelIiLi256EfPKDF16_S1_PDF16_EviT2_lT3_lT_lT4_lS5_li ; -- Begin function _ZL19rocblas_axpy_kernelIiLi256EfPKDF16_S1_PDF16_EviT2_lT3_lT_lT4_lS5_li
	.p2align	8
	.type	_ZL19rocblas_axpy_kernelIiLi256EfPKDF16_S1_PDF16_EviT2_lT3_lT_lT4_lS5_li,@function
_ZL19rocblas_axpy_kernelIiLi256EfPKDF16_S1_PDF16_EviT2_lT3_lT_lT4_lS5_li: ; @_ZL19rocblas_axpy_kernelIiLi256EfPKDF16_S1_PDF16_EviT2_lT3_lT_lT4_lS5_li
; %bb.0:
	s_load_dword s8, s[4:5], 0x0
	s_load_dwordx4 s[0:3], s[4:5], 0x8
	v_mov_b32_e32 v1, 0
	v_lshl_or_b32 v0, s6, 8, v0
	s_waitcnt lgkmcnt(0)
	s_ashr_i32 s9, s8, 31
	s_mul_i32 s3, s3, s7
	s_mul_hi_u32 s10, s2, s7
	s_add_i32 s3, s10, s3
	s_mul_i32 s2, s2, s7
	s_lshl_b64 s[2:3], s[2:3], 1
	s_add_u32 s0, s0, s2
	s_addc_u32 s1, s1, s3
	global_load_ushort v2, v1, s[0:1]
	v_cmp_gt_i64_e32 vcc, s[8:9], v[0:1]
	s_waitcnt vmcnt(0)
	v_cmp_neq_f16_e64 s[0:1], 0, v2
	s_and_b64 s[0:1], vcc, s[0:1]
	s_and_saveexec_b64 s[2:3], s[0:1]
	s_cbranch_execz .LBB118_2
; %bb.1:
	s_load_dword s6, s[4:5], 0x28
	s_load_dwordx4 s[8:11], s[4:5], 0x18
	s_waitcnt lgkmcnt(0)
	v_mad_u64_u32 v[3:4], s[0:1], s6, v0, 0
	s_load_dwordx4 s[0:3], s[4:5], 0x30
	s_load_dwordx2 s[12:13], s[4:5], 0x40
	s_load_dword s16, s[4:5], 0x48
	s_ashr_i32 s6, s6, 31
	v_mov_b32_e32 v1, v4
	v_mad_u64_u32 v[4:5], s[14:15], s6, v0, v[1:2]
	s_waitcnt lgkmcnt(0)
	s_mul_i32 s1, s1, s7
	s_mul_hi_u32 s14, s0, s7
	s_add_i32 s1, s14, s1
	s_mul_i32 s0, s0, s7
	s_ashr_i32 s6, s16, 31
	s_lshl_b64 s[0:1], s[0:1], 1
	s_add_u32 s8, s8, s0
	s_addc_u32 s14, s9, s1
	s_lshl_b64 s[0:1], s[10:11], 1
	s_add_u32 s10, s8, s0
	v_mad_u64_u32 v[5:6], s[8:9], s16, v0, 0
	s_load_dwordx2 s[4:5], s[4:5], 0x50
	s_addc_u32 s0, s14, s1
	v_mov_b32_e32 v1, v6
	v_mov_b32_e32 v7, s0
	v_mad_u64_u32 v[0:1], s[0:1], s6, v0, v[1:2]
	s_waitcnt lgkmcnt(0)
	s_mul_i32 s0, s5, s7
	s_mul_hi_u32 s1, s4, s7
	s_add_i32 s1, s1, s0
	s_mul_i32 s0, s4, s7
	s_lshl_b64 s[0:1], s[0:1], 1
	v_lshlrev_b64 v[3:4], 1, v[3:4]
	s_add_u32 s2, s2, s0
	v_mov_b32_e32 v6, v0
	s_addc_u32 s3, s3, s1
	s_lshl_b64 s[0:1], s[12:13], 1
	v_add_co_u32_e32 v3, vcc, s10, v3
	s_add_u32 s0, s2, s0
	v_lshlrev_b64 v[0:1], 1, v[5:6]
	v_addc_co_u32_e32 v4, vcc, v7, v4, vcc
	s_addc_u32 s1, s3, s1
	v_mov_b32_e32 v5, s1
	v_add_co_u32_e32 v0, vcc, s0, v0
	v_addc_co_u32_e32 v1, vcc, v5, v1, vcc
	global_load_ushort v5, v[0:1], off
	global_load_ushort v6, v[3:4], off
	s_waitcnt vmcnt(0)
	v_fma_mixlo_f16 v2, v2, v6, v5 op_sel_hi:[1,1,1]
	global_store_short v[0:1], v2, off
.LBB118_2:
	s_endpgm
	.section	.rodata,"a",@progbits
	.p2align	6, 0x0
	.amdhsa_kernel _ZL19rocblas_axpy_kernelIiLi256EfPKDF16_S1_PDF16_EviT2_lT3_lT_lT4_lS5_li
		.amdhsa_group_segment_fixed_size 0
		.amdhsa_private_segment_fixed_size 0
		.amdhsa_kernarg_size 92
		.amdhsa_user_sgpr_count 6
		.amdhsa_user_sgpr_private_segment_buffer 1
		.amdhsa_user_sgpr_dispatch_ptr 0
		.amdhsa_user_sgpr_queue_ptr 0
		.amdhsa_user_sgpr_kernarg_segment_ptr 1
		.amdhsa_user_sgpr_dispatch_id 0
		.amdhsa_user_sgpr_flat_scratch_init 0
		.amdhsa_user_sgpr_private_segment_size 0
		.amdhsa_uses_dynamic_stack 0
		.amdhsa_system_sgpr_private_segment_wavefront_offset 0
		.amdhsa_system_sgpr_workgroup_id_x 1
		.amdhsa_system_sgpr_workgroup_id_y 0
		.amdhsa_system_sgpr_workgroup_id_z 1
		.amdhsa_system_sgpr_workgroup_info 0
		.amdhsa_system_vgpr_workitem_id 0
		.amdhsa_next_free_vgpr 8
		.amdhsa_next_free_sgpr 17
		.amdhsa_reserve_vcc 1
		.amdhsa_reserve_flat_scratch 0
		.amdhsa_float_round_mode_32 0
		.amdhsa_float_round_mode_16_64 0
		.amdhsa_float_denorm_mode_32 3
		.amdhsa_float_denorm_mode_16_64 3
		.amdhsa_dx10_clamp 1
		.amdhsa_ieee_mode 1
		.amdhsa_fp16_overflow 0
		.amdhsa_exception_fp_ieee_invalid_op 0
		.amdhsa_exception_fp_denorm_src 0
		.amdhsa_exception_fp_ieee_div_zero 0
		.amdhsa_exception_fp_ieee_overflow 0
		.amdhsa_exception_fp_ieee_underflow 0
		.amdhsa_exception_fp_ieee_inexact 0
		.amdhsa_exception_int_div_zero 0
	.end_amdhsa_kernel
	.section	.text._ZL19rocblas_axpy_kernelIiLi256EfPKDF16_S1_PDF16_EviT2_lT3_lT_lT4_lS5_li,"axG",@progbits,_ZL19rocblas_axpy_kernelIiLi256EfPKDF16_S1_PDF16_EviT2_lT3_lT_lT4_lS5_li,comdat
.Lfunc_end118:
	.size	_ZL19rocblas_axpy_kernelIiLi256EfPKDF16_S1_PDF16_EviT2_lT3_lT_lT4_lS5_li, .Lfunc_end118-_ZL19rocblas_axpy_kernelIiLi256EfPKDF16_S1_PDF16_EviT2_lT3_lT_lT4_lS5_li
                                        ; -- End function
	.set _ZL19rocblas_axpy_kernelIiLi256EfPKDF16_S1_PDF16_EviT2_lT3_lT_lT4_lS5_li.num_vgpr, 8
	.set _ZL19rocblas_axpy_kernelIiLi256EfPKDF16_S1_PDF16_EviT2_lT3_lT_lT4_lS5_li.num_agpr, 0
	.set _ZL19rocblas_axpy_kernelIiLi256EfPKDF16_S1_PDF16_EviT2_lT3_lT_lT4_lS5_li.numbered_sgpr, 17
	.set _ZL19rocblas_axpy_kernelIiLi256EfPKDF16_S1_PDF16_EviT2_lT3_lT_lT4_lS5_li.num_named_barrier, 0
	.set _ZL19rocblas_axpy_kernelIiLi256EfPKDF16_S1_PDF16_EviT2_lT3_lT_lT4_lS5_li.private_seg_size, 0
	.set _ZL19rocblas_axpy_kernelIiLi256EfPKDF16_S1_PDF16_EviT2_lT3_lT_lT4_lS5_li.uses_vcc, 1
	.set _ZL19rocblas_axpy_kernelIiLi256EfPKDF16_S1_PDF16_EviT2_lT3_lT_lT4_lS5_li.uses_flat_scratch, 0
	.set _ZL19rocblas_axpy_kernelIiLi256EfPKDF16_S1_PDF16_EviT2_lT3_lT_lT4_lS5_li.has_dyn_sized_stack, 0
	.set _ZL19rocblas_axpy_kernelIiLi256EfPKDF16_S1_PDF16_EviT2_lT3_lT_lT4_lS5_li.has_recursion, 0
	.set _ZL19rocblas_axpy_kernelIiLi256EfPKDF16_S1_PDF16_EviT2_lT3_lT_lT4_lS5_li.has_indirect_call, 0
	.section	.AMDGPU.csdata,"",@progbits
; Kernel info:
; codeLenInByte = 372
; TotalNumSgprs: 21
; NumVgprs: 8
; ScratchSize: 0
; MemoryBound: 0
; FloatMode: 240
; IeeeMode: 1
; LDSByteSize: 0 bytes/workgroup (compile time only)
; SGPRBlocks: 2
; VGPRBlocks: 1
; NumSGPRsForWavesPerEU: 21
; NumVGPRsForWavesPerEU: 8
; Occupancy: 10
; WaveLimiterHint : 0
; COMPUTE_PGM_RSRC2:SCRATCH_EN: 0
; COMPUTE_PGM_RSRC2:USER_SGPR: 6
; COMPUTE_PGM_RSRC2:TRAP_HANDLER: 0
; COMPUTE_PGM_RSRC2:TGID_X_EN: 1
; COMPUTE_PGM_RSRC2:TGID_Y_EN: 0
; COMPUTE_PGM_RSRC2:TGID_Z_EN: 1
; COMPUTE_PGM_RSRC2:TIDIG_COMP_CNT: 0
	.section	.text._ZL19rocblas_axpy_kernelIiLi256EfDF16_PKDF16_PDF16_EviT2_lT3_lT_lT4_lS5_li,"axG",@progbits,_ZL19rocblas_axpy_kernelIiLi256EfDF16_PKDF16_PDF16_EviT2_lT3_lT_lT4_lS5_li,comdat
	.globl	_ZL19rocblas_axpy_kernelIiLi256EfDF16_PKDF16_PDF16_EviT2_lT3_lT_lT4_lS5_li ; -- Begin function _ZL19rocblas_axpy_kernelIiLi256EfDF16_PKDF16_PDF16_EviT2_lT3_lT_lT4_lS5_li
	.p2align	8
	.type	_ZL19rocblas_axpy_kernelIiLi256EfDF16_PKDF16_PDF16_EviT2_lT3_lT_lT4_lS5_li,@function
_ZL19rocblas_axpy_kernelIiLi256EfDF16_PKDF16_PDF16_EviT2_lT3_lT_lT4_lS5_li: ; @_ZL19rocblas_axpy_kernelIiLi256EfDF16_PKDF16_PDF16_EviT2_lT3_lT_lT4_lS5_li
; %bb.0:
	s_load_dwordx2 s[8:9], s[4:5], 0x0
	v_lshl_or_b32 v0, s6, 8, v0
	v_mov_b32_e32 v1, 0
	s_waitcnt lgkmcnt(0)
	s_ashr_i32 s1, s8, 31
	s_mov_b32 s0, s8
	v_cmp_gt_i64_e32 vcc, s[0:1], v[0:1]
	v_cmp_neq_f16_e64 s[0:1], s9, 0
	s_and_b64 s[0:1], s[0:1], vcc
	s_and_saveexec_b64 s[2:3], s[0:1]
	s_cbranch_execz .LBB119_2
; %bb.1:
	s_load_dword s6, s[4:5], 0x20
	s_load_dwordx4 s[12:15], s[4:5], 0x10
	s_waitcnt lgkmcnt(0)
	v_mad_u64_u32 v[1:2], s[0:1], s6, v0, 0
	s_load_dwordx4 s[0:3], s[4:5], 0x28
	s_load_dwordx2 s[10:11], s[4:5], 0x38
	s_load_dword s8, s[4:5], 0x40
	s_ashr_i32 s6, s6, 31
	v_mad_u64_u32 v[2:3], s[16:17], s6, v0, v[2:3]
	s_waitcnt lgkmcnt(0)
	s_mul_i32 s1, s1, s7
	s_mul_hi_u32 s16, s0, s7
	s_add_i32 s1, s16, s1
	s_mul_i32 s0, s0, s7
	s_ashr_i32 s6, s8, 31
	s_lshl_b64 s[0:1], s[0:1], 1
	s_add_u32 s12, s12, s0
	s_addc_u32 s16, s13, s1
	s_lshl_b64 s[0:1], s[14:15], 1
	s_load_dwordx2 s[4:5], s[4:5], 0x48
	s_add_u32 s14, s12, s0
	v_mad_u64_u32 v[3:4], s[12:13], s8, v0, 0
	s_addc_u32 s0, s16, s1
	v_mov_b32_e32 v6, s0
	v_mad_u64_u32 v[4:5], s[0:1], s6, v0, v[4:5]
	s_waitcnt lgkmcnt(0)
	s_mul_i32 s0, s5, s7
	s_mul_hi_u32 s1, s4, s7
	s_add_i32 s1, s1, s0
	s_mul_i32 s0, s4, s7
	v_lshlrev_b64 v[1:2], 1, v[1:2]
	s_lshl_b64 s[0:1], s[0:1], 1
	s_add_u32 s2, s2, s0
	v_add_co_u32_e32 v0, vcc, s14, v1
	s_addc_u32 s3, s3, s1
	s_lshl_b64 s[0:1], s[10:11], 1
	v_addc_co_u32_e32 v1, vcc, v6, v2, vcc
	s_add_u32 s0, s2, s0
	v_lshlrev_b64 v[2:3], 1, v[3:4]
	s_addc_u32 s1, s3, s1
	v_mov_b32_e32 v4, s1
	v_add_co_u32_e32 v2, vcc, s0, v2
	v_addc_co_u32_e32 v3, vcc, v4, v3, vcc
	global_load_ushort v4, v[2:3], off
	global_load_ushort v5, v[0:1], off
	s_waitcnt vmcnt(0)
	v_fma_mixlo_f16 v0, s9, v5, v4 op_sel_hi:[1,1,1]
	global_store_short v[2:3], v0, off
.LBB119_2:
	s_endpgm
	.section	.rodata,"a",@progbits
	.p2align	6, 0x0
	.amdhsa_kernel _ZL19rocblas_axpy_kernelIiLi256EfDF16_PKDF16_PDF16_EviT2_lT3_lT_lT4_lS5_li
		.amdhsa_group_segment_fixed_size 0
		.amdhsa_private_segment_fixed_size 0
		.amdhsa_kernarg_size 84
		.amdhsa_user_sgpr_count 6
		.amdhsa_user_sgpr_private_segment_buffer 1
		.amdhsa_user_sgpr_dispatch_ptr 0
		.amdhsa_user_sgpr_queue_ptr 0
		.amdhsa_user_sgpr_kernarg_segment_ptr 1
		.amdhsa_user_sgpr_dispatch_id 0
		.amdhsa_user_sgpr_flat_scratch_init 0
		.amdhsa_user_sgpr_private_segment_size 0
		.amdhsa_uses_dynamic_stack 0
		.amdhsa_system_sgpr_private_segment_wavefront_offset 0
		.amdhsa_system_sgpr_workgroup_id_x 1
		.amdhsa_system_sgpr_workgroup_id_y 0
		.amdhsa_system_sgpr_workgroup_id_z 1
		.amdhsa_system_sgpr_workgroup_info 0
		.amdhsa_system_vgpr_workitem_id 0
		.amdhsa_next_free_vgpr 7
		.amdhsa_next_free_sgpr 18
		.amdhsa_reserve_vcc 1
		.amdhsa_reserve_flat_scratch 0
		.amdhsa_float_round_mode_32 0
		.amdhsa_float_round_mode_16_64 0
		.amdhsa_float_denorm_mode_32 3
		.amdhsa_float_denorm_mode_16_64 3
		.amdhsa_dx10_clamp 1
		.amdhsa_ieee_mode 1
		.amdhsa_fp16_overflow 0
		.amdhsa_exception_fp_ieee_invalid_op 0
		.amdhsa_exception_fp_denorm_src 0
		.amdhsa_exception_fp_ieee_div_zero 0
		.amdhsa_exception_fp_ieee_overflow 0
		.amdhsa_exception_fp_ieee_underflow 0
		.amdhsa_exception_fp_ieee_inexact 0
		.amdhsa_exception_int_div_zero 0
	.end_amdhsa_kernel
	.section	.text._ZL19rocblas_axpy_kernelIiLi256EfDF16_PKDF16_PDF16_EviT2_lT3_lT_lT4_lS5_li,"axG",@progbits,_ZL19rocblas_axpy_kernelIiLi256EfDF16_PKDF16_PDF16_EviT2_lT3_lT_lT4_lS5_li,comdat
.Lfunc_end119:
	.size	_ZL19rocblas_axpy_kernelIiLi256EfDF16_PKDF16_PDF16_EviT2_lT3_lT_lT4_lS5_li, .Lfunc_end119-_ZL19rocblas_axpy_kernelIiLi256EfDF16_PKDF16_PDF16_EviT2_lT3_lT_lT4_lS5_li
                                        ; -- End function
	.set _ZL19rocblas_axpy_kernelIiLi256EfDF16_PKDF16_PDF16_EviT2_lT3_lT_lT4_lS5_li.num_vgpr, 7
	.set _ZL19rocblas_axpy_kernelIiLi256EfDF16_PKDF16_PDF16_EviT2_lT3_lT_lT4_lS5_li.num_agpr, 0
	.set _ZL19rocblas_axpy_kernelIiLi256EfDF16_PKDF16_PDF16_EviT2_lT3_lT_lT4_lS5_li.numbered_sgpr, 18
	.set _ZL19rocblas_axpy_kernelIiLi256EfDF16_PKDF16_PDF16_EviT2_lT3_lT_lT4_lS5_li.num_named_barrier, 0
	.set _ZL19rocblas_axpy_kernelIiLi256EfDF16_PKDF16_PDF16_EviT2_lT3_lT_lT4_lS5_li.private_seg_size, 0
	.set _ZL19rocblas_axpy_kernelIiLi256EfDF16_PKDF16_PDF16_EviT2_lT3_lT_lT4_lS5_li.uses_vcc, 1
	.set _ZL19rocblas_axpy_kernelIiLi256EfDF16_PKDF16_PDF16_EviT2_lT3_lT_lT4_lS5_li.uses_flat_scratch, 0
	.set _ZL19rocblas_axpy_kernelIiLi256EfDF16_PKDF16_PDF16_EviT2_lT3_lT_lT4_lS5_li.has_dyn_sized_stack, 0
	.set _ZL19rocblas_axpy_kernelIiLi256EfDF16_PKDF16_PDF16_EviT2_lT3_lT_lT4_lS5_li.has_recursion, 0
	.set _ZL19rocblas_axpy_kernelIiLi256EfDF16_PKDF16_PDF16_EviT2_lT3_lT_lT4_lS5_li.has_indirect_call, 0
	.section	.AMDGPU.csdata,"",@progbits
; Kernel info:
; codeLenInByte = 316
; TotalNumSgprs: 22
; NumVgprs: 7
; ScratchSize: 0
; MemoryBound: 0
; FloatMode: 240
; IeeeMode: 1
; LDSByteSize: 0 bytes/workgroup (compile time only)
; SGPRBlocks: 2
; VGPRBlocks: 1
; NumSGPRsForWavesPerEU: 22
; NumVGPRsForWavesPerEU: 7
; Occupancy: 10
; WaveLimiterHint : 0
; COMPUTE_PGM_RSRC2:SCRATCH_EN: 0
; COMPUTE_PGM_RSRC2:USER_SGPR: 6
; COMPUTE_PGM_RSRC2:TRAP_HANDLER: 0
; COMPUTE_PGM_RSRC2:TGID_X_EN: 1
; COMPUTE_PGM_RSRC2:TGID_Y_EN: 0
; COMPUTE_PGM_RSRC2:TGID_Z_EN: 1
; COMPUTE_PGM_RSRC2:TIDIG_COMP_CNT: 0
	.section	.text._ZL26rocblas_haxpy_mod_8_kernelILi256EPKfPKDF16_PDF16_EviT0_lT1_llT2_lli,"axG",@progbits,_ZL26rocblas_haxpy_mod_8_kernelILi256EPKfPKDF16_PDF16_EviT0_lT1_llT2_lli,comdat
	.globl	_ZL26rocblas_haxpy_mod_8_kernelILi256EPKfPKDF16_PDF16_EviT0_lT1_llT2_lli ; -- Begin function _ZL26rocblas_haxpy_mod_8_kernelILi256EPKfPKDF16_PDF16_EviT0_lT1_llT2_lli
	.p2align	8
	.type	_ZL26rocblas_haxpy_mod_8_kernelILi256EPKfPKDF16_PDF16_EviT0_lT1_llT2_lli,@function
_ZL26rocblas_haxpy_mod_8_kernelILi256EPKfPKDF16_PDF16_EviT0_lT1_llT2_lli: ; @_ZL26rocblas_haxpy_mod_8_kernelILi256EPKfPKDF16_PDF16_EviT0_lT1_llT2_lli
; %bb.0:
	s_load_dword s2, s[4:5], 0x0
	s_load_dwordx16 s[8:23], s[4:5], 0x8
	v_lshl_or_b32 v0, s6, 8, v0
	v_mov_b32_e32 v1, 0
	s_waitcnt lgkmcnt(0)
	s_ashr_i32 s3, s2, 31
	s_mul_i32 s0, s11, s7
	s_mul_hi_u32 s1, s10, s7
	s_add_i32 s1, s1, s0
	s_mul_i32 s0, s10, s7
	s_lshl_b64 s[0:1], s[0:1], 2
	s_add_u32 s0, s8, s0
	s_addc_u32 s1, s9, s1
	s_load_dword s0, s[0:1], 0x0
	v_cmp_gt_i64_e32 vcc, s[2:3], v[0:1]
	s_waitcnt lgkmcnt(0)
	v_cmp_neq_f32_e64 s[2:3], s0, 0
	s_and_b64 s[2:3], vcc, s[2:3]
	s_and_saveexec_b64 s[4:5], s[2:3]
	s_cbranch_execz .LBB120_2
; %bb.1:
	s_mul_i32 s1, s17, s7
	s_mul_hi_u32 s2, s16, s7
	s_add_i32 s3, s2, s1
	s_mul_i32 s2, s16, s7
	s_lshl_b64 s[2:3], s[2:3], 1
	s_add_u32 s1, s12, s2
	s_addc_u32 s4, s13, s3
	s_lshl_b64 s[2:3], s[14:15], 1
	s_add_u32 s1, s1, s2
	v_lshlrev_b64 v[0:1], 1, v[0:1]
	s_addc_u32 s2, s4, s3
	v_mov_b32_e32 v3, s2
	v_add_co_u32_e32 v2, vcc, s1, v0
	s_mul_i32 s1, s23, s7
	s_mul_hi_u32 s2, s22, s7
	s_add_i32 s3, s2, s1
	s_mul_i32 s2, s22, s7
	s_lshl_b64 s[2:3], s[2:3], 1
	s_add_u32 s1, s18, s2
	s_addc_u32 s4, s19, s3
	s_lshl_b64 s[2:3], s[20:21], 1
	s_add_u32 s1, s1, s2
	v_addc_co_u32_e32 v3, vcc, v3, v1, vcc
	s_addc_u32 s2, s4, s3
	v_mov_b32_e32 v4, s2
	v_add_co_u32_e32 v0, vcc, s1, v0
	v_addc_co_u32_e32 v1, vcc, v4, v1, vcc
	global_load_ushort v4, v[2:3], off
	global_load_ushort v5, v[0:1], off
	s_waitcnt vmcnt(0)
	v_fma_mixlo_f16 v2, s0, v4, v5 op_sel_hi:[0,1,1]
	global_store_short v[0:1], v2, off
.LBB120_2:
	s_endpgm
	.section	.rodata,"a",@progbits
	.p2align	6, 0x0
	.amdhsa_kernel _ZL26rocblas_haxpy_mod_8_kernelILi256EPKfPKDF16_PDF16_EviT0_lT1_llT2_lli
		.amdhsa_group_segment_fixed_size 0
		.amdhsa_private_segment_fixed_size 0
		.amdhsa_kernarg_size 76
		.amdhsa_user_sgpr_count 6
		.amdhsa_user_sgpr_private_segment_buffer 1
		.amdhsa_user_sgpr_dispatch_ptr 0
		.amdhsa_user_sgpr_queue_ptr 0
		.amdhsa_user_sgpr_kernarg_segment_ptr 1
		.amdhsa_user_sgpr_dispatch_id 0
		.amdhsa_user_sgpr_flat_scratch_init 0
		.amdhsa_user_sgpr_private_segment_size 0
		.amdhsa_uses_dynamic_stack 0
		.amdhsa_system_sgpr_private_segment_wavefront_offset 0
		.amdhsa_system_sgpr_workgroup_id_x 1
		.amdhsa_system_sgpr_workgroup_id_y 0
		.amdhsa_system_sgpr_workgroup_id_z 1
		.amdhsa_system_sgpr_workgroup_info 0
		.amdhsa_system_vgpr_workitem_id 0
		.amdhsa_next_free_vgpr 6
		.amdhsa_next_free_sgpr 24
		.amdhsa_reserve_vcc 1
		.amdhsa_reserve_flat_scratch 0
		.amdhsa_float_round_mode_32 0
		.amdhsa_float_round_mode_16_64 0
		.amdhsa_float_denorm_mode_32 3
		.amdhsa_float_denorm_mode_16_64 3
		.amdhsa_dx10_clamp 1
		.amdhsa_ieee_mode 1
		.amdhsa_fp16_overflow 0
		.amdhsa_exception_fp_ieee_invalid_op 0
		.amdhsa_exception_fp_denorm_src 0
		.amdhsa_exception_fp_ieee_div_zero 0
		.amdhsa_exception_fp_ieee_overflow 0
		.amdhsa_exception_fp_ieee_underflow 0
		.amdhsa_exception_fp_ieee_inexact 0
		.amdhsa_exception_int_div_zero 0
	.end_amdhsa_kernel
	.section	.text._ZL26rocblas_haxpy_mod_8_kernelILi256EPKfPKDF16_PDF16_EviT0_lT1_llT2_lli,"axG",@progbits,_ZL26rocblas_haxpy_mod_8_kernelILi256EPKfPKDF16_PDF16_EviT0_lT1_llT2_lli,comdat
.Lfunc_end120:
	.size	_ZL26rocblas_haxpy_mod_8_kernelILi256EPKfPKDF16_PDF16_EviT0_lT1_llT2_lli, .Lfunc_end120-_ZL26rocblas_haxpy_mod_8_kernelILi256EPKfPKDF16_PDF16_EviT0_lT1_llT2_lli
                                        ; -- End function
	.set _ZL26rocblas_haxpy_mod_8_kernelILi256EPKfPKDF16_PDF16_EviT0_lT1_llT2_lli.num_vgpr, 6
	.set _ZL26rocblas_haxpy_mod_8_kernelILi256EPKfPKDF16_PDF16_EviT0_lT1_llT2_lli.num_agpr, 0
	.set _ZL26rocblas_haxpy_mod_8_kernelILi256EPKfPKDF16_PDF16_EviT0_lT1_llT2_lli.numbered_sgpr, 24
	.set _ZL26rocblas_haxpy_mod_8_kernelILi256EPKfPKDF16_PDF16_EviT0_lT1_llT2_lli.num_named_barrier, 0
	.set _ZL26rocblas_haxpy_mod_8_kernelILi256EPKfPKDF16_PDF16_EviT0_lT1_llT2_lli.private_seg_size, 0
	.set _ZL26rocblas_haxpy_mod_8_kernelILi256EPKfPKDF16_PDF16_EviT0_lT1_llT2_lli.uses_vcc, 1
	.set _ZL26rocblas_haxpy_mod_8_kernelILi256EPKfPKDF16_PDF16_EviT0_lT1_llT2_lli.uses_flat_scratch, 0
	.set _ZL26rocblas_haxpy_mod_8_kernelILi256EPKfPKDF16_PDF16_EviT0_lT1_llT2_lli.has_dyn_sized_stack, 0
	.set _ZL26rocblas_haxpy_mod_8_kernelILi256EPKfPKDF16_PDF16_EviT0_lT1_llT2_lli.has_recursion, 0
	.set _ZL26rocblas_haxpy_mod_8_kernelILi256EPKfPKDF16_PDF16_EviT0_lT1_llT2_lli.has_indirect_call, 0
	.section	.AMDGPU.csdata,"",@progbits
; Kernel info:
; codeLenInByte = 252
; TotalNumSgprs: 28
; NumVgprs: 6
; ScratchSize: 0
; MemoryBound: 0
; FloatMode: 240
; IeeeMode: 1
; LDSByteSize: 0 bytes/workgroup (compile time only)
; SGPRBlocks: 3
; VGPRBlocks: 1
; NumSGPRsForWavesPerEU: 28
; NumVGPRsForWavesPerEU: 6
; Occupancy: 10
; WaveLimiterHint : 0
; COMPUTE_PGM_RSRC2:SCRATCH_EN: 0
; COMPUTE_PGM_RSRC2:USER_SGPR: 6
; COMPUTE_PGM_RSRC2:TRAP_HANDLER: 0
; COMPUTE_PGM_RSRC2:TGID_X_EN: 1
; COMPUTE_PGM_RSRC2:TGID_Y_EN: 0
; COMPUTE_PGM_RSRC2:TGID_Z_EN: 1
; COMPUTE_PGM_RSRC2:TIDIG_COMP_CNT: 0
	.section	.text._ZL26rocblas_haxpy_mod_8_kernelILi256EfPKDF16_PDF16_EviT0_lT1_llT2_lli,"axG",@progbits,_ZL26rocblas_haxpy_mod_8_kernelILi256EfPKDF16_PDF16_EviT0_lT1_llT2_lli,comdat
	.globl	_ZL26rocblas_haxpy_mod_8_kernelILi256EfPKDF16_PDF16_EviT0_lT1_llT2_lli ; -- Begin function _ZL26rocblas_haxpy_mod_8_kernelILi256EfPKDF16_PDF16_EviT0_lT1_llT2_lli
	.p2align	8
	.type	_ZL26rocblas_haxpy_mod_8_kernelILi256EfPKDF16_PDF16_EviT0_lT1_llT2_lli,@function
_ZL26rocblas_haxpy_mod_8_kernelILi256EfPKDF16_PDF16_EviT0_lT1_llT2_lli: ; @_ZL26rocblas_haxpy_mod_8_kernelILi256EfPKDF16_PDF16_EviT0_lT1_llT2_lli
; %bb.0:
	s_load_dwordx2 s[0:1], s[4:5], 0x0
	v_lshl_or_b32 v0, s6, 8, v0
	v_mov_b32_e32 v1, 0
	s_waitcnt lgkmcnt(0)
	s_ashr_i32 s3, s0, 31
	s_mov_b32 s2, s0
	v_cmp_gt_i64_e32 vcc, s[2:3], v[0:1]
	v_cmp_neq_f32_e64 s[2:3], s1, 0
	s_and_b64 s[2:3], s[2:3], vcc
	s_and_saveexec_b64 s[8:9], s[2:3]
	s_cbranch_execz .LBB121_2
; %bb.1:
	s_load_dwordx8 s[8:15], s[4:5], 0x10
	s_load_dwordx4 s[16:19], s[4:5], 0x30
	v_lshlrev_b64 v[0:1], 1, v[0:1]
	s_waitcnt lgkmcnt(0)
	s_mul_i32 s0, s13, s7
	s_mul_hi_u32 s3, s12, s7
	s_mul_i32 s2, s12, s7
	s_add_i32 s3, s3, s0
	s_lshl_b64 s[2:3], s[2:3], 1
	s_add_u32 s0, s8, s2
	s_addc_u32 s4, s9, s3
	s_lshl_b64 s[2:3], s[10:11], 1
	s_add_u32 s0, s0, s2
	s_addc_u32 s2, s4, s3
	v_mov_b32_e32 v3, s2
	v_add_co_u32_e32 v2, vcc, s0, v0
	s_mul_i32 s0, s19, s7
	s_mul_hi_u32 s2, s18, s7
	s_add_i32 s3, s2, s0
	s_mul_i32 s2, s18, s7
	s_lshl_b64 s[2:3], s[2:3], 1
	s_add_u32 s0, s14, s2
	s_addc_u32 s4, s15, s3
	s_lshl_b64 s[2:3], s[16:17], 1
	s_add_u32 s0, s0, s2
	v_addc_co_u32_e32 v3, vcc, v3, v1, vcc
	s_addc_u32 s2, s4, s3
	v_mov_b32_e32 v4, s2
	v_add_co_u32_e32 v0, vcc, s0, v0
	v_addc_co_u32_e32 v1, vcc, v4, v1, vcc
	global_load_ushort v4, v[2:3], off
	global_load_ushort v5, v[0:1], off
	s_waitcnt vmcnt(0)
	v_fma_mixlo_f16 v2, s1, v4, v5 op_sel_hi:[0,1,1]
	global_store_short v[0:1], v2, off
.LBB121_2:
	s_endpgm
	.section	.rodata,"a",@progbits
	.p2align	6, 0x0
	.amdhsa_kernel _ZL26rocblas_haxpy_mod_8_kernelILi256EfPKDF16_PDF16_EviT0_lT1_llT2_lli
		.amdhsa_group_segment_fixed_size 0
		.amdhsa_private_segment_fixed_size 0
		.amdhsa_kernarg_size 68
		.amdhsa_user_sgpr_count 6
		.amdhsa_user_sgpr_private_segment_buffer 1
		.amdhsa_user_sgpr_dispatch_ptr 0
		.amdhsa_user_sgpr_queue_ptr 0
		.amdhsa_user_sgpr_kernarg_segment_ptr 1
		.amdhsa_user_sgpr_dispatch_id 0
		.amdhsa_user_sgpr_flat_scratch_init 0
		.amdhsa_user_sgpr_private_segment_size 0
		.amdhsa_uses_dynamic_stack 0
		.amdhsa_system_sgpr_private_segment_wavefront_offset 0
		.amdhsa_system_sgpr_workgroup_id_x 1
		.amdhsa_system_sgpr_workgroup_id_y 0
		.amdhsa_system_sgpr_workgroup_id_z 1
		.amdhsa_system_sgpr_workgroup_info 0
		.amdhsa_system_vgpr_workitem_id 0
		.amdhsa_next_free_vgpr 6
		.amdhsa_next_free_sgpr 20
		.amdhsa_reserve_vcc 1
		.amdhsa_reserve_flat_scratch 0
		.amdhsa_float_round_mode_32 0
		.amdhsa_float_round_mode_16_64 0
		.amdhsa_float_denorm_mode_32 3
		.amdhsa_float_denorm_mode_16_64 3
		.amdhsa_dx10_clamp 1
		.amdhsa_ieee_mode 1
		.amdhsa_fp16_overflow 0
		.amdhsa_exception_fp_ieee_invalid_op 0
		.amdhsa_exception_fp_denorm_src 0
		.amdhsa_exception_fp_ieee_div_zero 0
		.amdhsa_exception_fp_ieee_overflow 0
		.amdhsa_exception_fp_ieee_underflow 0
		.amdhsa_exception_fp_ieee_inexact 0
		.amdhsa_exception_int_div_zero 0
	.end_amdhsa_kernel
	.section	.text._ZL26rocblas_haxpy_mod_8_kernelILi256EfPKDF16_PDF16_EviT0_lT1_llT2_lli,"axG",@progbits,_ZL26rocblas_haxpy_mod_8_kernelILi256EfPKDF16_PDF16_EviT0_lT1_llT2_lli,comdat
.Lfunc_end121:
	.size	_ZL26rocblas_haxpy_mod_8_kernelILi256EfPKDF16_PDF16_EviT0_lT1_llT2_lli, .Lfunc_end121-_ZL26rocblas_haxpy_mod_8_kernelILi256EfPKDF16_PDF16_EviT0_lT1_llT2_lli
                                        ; -- End function
	.set _ZL26rocblas_haxpy_mod_8_kernelILi256EfPKDF16_PDF16_EviT0_lT1_llT2_lli.num_vgpr, 6
	.set _ZL26rocblas_haxpy_mod_8_kernelILi256EfPKDF16_PDF16_EviT0_lT1_llT2_lli.num_agpr, 0
	.set _ZL26rocblas_haxpy_mod_8_kernelILi256EfPKDF16_PDF16_EviT0_lT1_llT2_lli.numbered_sgpr, 20
	.set _ZL26rocblas_haxpy_mod_8_kernelILi256EfPKDF16_PDF16_EviT0_lT1_llT2_lli.num_named_barrier, 0
	.set _ZL26rocblas_haxpy_mod_8_kernelILi256EfPKDF16_PDF16_EviT0_lT1_llT2_lli.private_seg_size, 0
	.set _ZL26rocblas_haxpy_mod_8_kernelILi256EfPKDF16_PDF16_EviT0_lT1_llT2_lli.uses_vcc, 1
	.set _ZL26rocblas_haxpy_mod_8_kernelILi256EfPKDF16_PDF16_EviT0_lT1_llT2_lli.uses_flat_scratch, 0
	.set _ZL26rocblas_haxpy_mod_8_kernelILi256EfPKDF16_PDF16_EviT0_lT1_llT2_lli.has_dyn_sized_stack, 0
	.set _ZL26rocblas_haxpy_mod_8_kernelILi256EfPKDF16_PDF16_EviT0_lT1_llT2_lli.has_recursion, 0
	.set _ZL26rocblas_haxpy_mod_8_kernelILi256EfPKDF16_PDF16_EviT0_lT1_llT2_lli.has_indirect_call, 0
	.section	.AMDGPU.csdata,"",@progbits
; Kernel info:
; codeLenInByte = 228
; TotalNumSgprs: 24
; NumVgprs: 6
; ScratchSize: 0
; MemoryBound: 0
; FloatMode: 240
; IeeeMode: 1
; LDSByteSize: 0 bytes/workgroup (compile time only)
; SGPRBlocks: 2
; VGPRBlocks: 1
; NumSGPRsForWavesPerEU: 24
; NumVGPRsForWavesPerEU: 6
; Occupancy: 10
; WaveLimiterHint : 0
; COMPUTE_PGM_RSRC2:SCRATCH_EN: 0
; COMPUTE_PGM_RSRC2:USER_SGPR: 6
; COMPUTE_PGM_RSRC2:TRAP_HANDLER: 0
; COMPUTE_PGM_RSRC2:TGID_X_EN: 1
; COMPUTE_PGM_RSRC2:TGID_Y_EN: 0
; COMPUTE_PGM_RSRC2:TGID_Z_EN: 1
; COMPUTE_PGM_RSRC2:TIDIG_COMP_CNT: 0
	.section	.text._ZL22rocblas_saxpy_2_kernelILi256EfPKfPKDF16_PDF16_EviT1_lT2_llT3_lli,"axG",@progbits,_ZL22rocblas_saxpy_2_kernelILi256EfPKfPKDF16_PDF16_EviT1_lT2_llT3_lli,comdat
	.globl	_ZL22rocblas_saxpy_2_kernelILi256EfPKfPKDF16_PDF16_EviT1_lT2_llT3_lli ; -- Begin function _ZL22rocblas_saxpy_2_kernelILi256EfPKfPKDF16_PDF16_EviT1_lT2_llT3_lli
	.p2align	8
	.type	_ZL22rocblas_saxpy_2_kernelILi256EfPKfPKDF16_PDF16_EviT1_lT2_llT3_lli,@function
_ZL22rocblas_saxpy_2_kernelILi256EfPKfPKDF16_PDF16_EviT1_lT2_llT3_lli: ; @_ZL22rocblas_saxpy_2_kernelILi256EfPKfPKDF16_PDF16_EviT1_lT2_llT3_lli
; %bb.0:
	s_load_dwordx4 s[0:3], s[4:5], 0x8
	s_waitcnt lgkmcnt(0)
	s_mul_i32 s3, s3, s7
	s_mul_hi_u32 s8, s2, s7
	s_add_i32 s3, s8, s3
	s_mul_i32 s2, s2, s7
	s_lshl_b64 s[2:3], s[2:3], 2
	s_add_u32 s0, s0, s2
	s_addc_u32 s1, s1, s3
	s_load_dword s8, s[0:1], 0x0
	s_waitcnt lgkmcnt(0)
	v_cmp_eq_f32_e64 s[0:1], s8, 0
	s_and_b64 vcc, exec, s[0:1]
	s_cbranch_vccnz .LBB122_5
; %bb.1:
	s_load_dwordx2 s[10:11], s[4:5], 0x18
	s_load_dword s9, s[4:5], 0x0
	s_load_dwordx2 s[16:17], s[4:5], 0x30
	s_load_dwordx4 s[0:3], s[4:5], 0x20
	s_load_dwordx4 s[12:15], s[4:5], 0x38
	v_lshlrev_b32_e32 v0, 1, v0
	v_lshl_or_b32 v0, s6, 9, v0
	v_mov_b32_e32 v1, 0
	s_waitcnt lgkmcnt(0)
	s_mul_i32 s3, s3, s7
	s_mul_hi_u32 s4, s2, s7
	s_add_i32 s3, s4, s3
	s_mul_i32 s2, s2, s7
	s_lshl_b64 s[2:3], s[2:3], 1
	s_add_u32 s2, s10, s2
	s_addc_u32 s3, s11, s3
	s_lshl_b64 s[0:1], s[0:1], 1
	s_add_u32 s4, s2, s0
	s_addc_u32 s5, s3, s1
	s_mul_i32 s0, s15, s7
	s_mul_hi_u32 s1, s14, s7
	s_add_i32 s1, s1, s0
	s_mul_i32 s0, s14, s7
	s_lshl_b64 s[0:1], s[0:1], 1
	s_add_u32 s2, s16, s0
	s_addc_u32 s3, s17, s1
	s_lshl_b64 s[0:1], s[12:13], 1
	s_add_u32 s6, s2, s0
	s_addc_u32 s7, s3, s1
	s_add_i32 s0, s9, -1
	s_ashr_i32 s1, s0, 31
	v_cmp_gt_i64_e32 vcc, s[0:1], v[0:1]
	v_lshlrev_b64 v[2:3], 1, v[0:1]
	s_and_saveexec_b64 s[2:3], vcc
	s_cbranch_execz .LBB122_3
; %bb.2:
	v_mov_b32_e32 v5, s7
	v_add_co_u32_e32 v4, vcc, s6, v2
	v_addc_co_u32_e32 v5, vcc, v5, v3, vcc
	v_mov_b32_e32 v7, s5
	v_add_co_u32_e32 v6, vcc, s4, v2
	v_addc_co_u32_e32 v7, vcc, v7, v3, vcc
	global_load_dword v8, v[4:5], off
	global_load_dword v9, v[6:7], off
	s_waitcnt vmcnt(0)
	v_fma_mixlo_f16 v6, s8, v9, v8 op_sel_hi:[0,1,1]
	v_fma_mixhi_f16 v6, s8, v9, v8 op_sel:[0,1,1] op_sel_hi:[0,1,1]
	global_store_dword v[4:5], v6, off
.LBB122_3:
	s_or_b64 exec, exec, s[2:3]
	s_bitcmp1_b32 s9, 0
	v_cmp_eq_u64_e32 vcc, s[0:1], v[0:1]
	s_cselect_b64 s[0:1], -1, 0
	s_and_b64 s[0:1], s[0:1], vcc
	s_and_saveexec_b64 s[2:3], s[0:1]
	s_cbranch_execz .LBB122_5
; %bb.4:
	v_mov_b32_e32 v1, s7
	v_add_co_u32_e32 v0, vcc, s6, v2
	v_addc_co_u32_e32 v1, vcc, v1, v3, vcc
	v_mov_b32_e32 v5, s5
	v_add_co_u32_e32 v2, vcc, s4, v2
	v_addc_co_u32_e32 v3, vcc, v5, v3, vcc
	global_load_ushort v4, v[0:1], off
	s_nop 0
	global_load_ushort v2, v[2:3], off
	s_waitcnt vmcnt(0)
	v_fma_mixlo_f16 v2, s8, v2, v4 op_sel_hi:[0,1,1]
	global_store_short v[0:1], v2, off
.LBB122_5:
	s_endpgm
	.section	.rodata,"a",@progbits
	.p2align	6, 0x0
	.amdhsa_kernel _ZL22rocblas_saxpy_2_kernelILi256EfPKfPKDF16_PDF16_EviT1_lT2_llT3_lli
		.amdhsa_group_segment_fixed_size 0
		.amdhsa_private_segment_fixed_size 0
		.amdhsa_kernarg_size 76
		.amdhsa_user_sgpr_count 6
		.amdhsa_user_sgpr_private_segment_buffer 1
		.amdhsa_user_sgpr_dispatch_ptr 0
		.amdhsa_user_sgpr_queue_ptr 0
		.amdhsa_user_sgpr_kernarg_segment_ptr 1
		.amdhsa_user_sgpr_dispatch_id 0
		.amdhsa_user_sgpr_flat_scratch_init 0
		.amdhsa_user_sgpr_private_segment_size 0
		.amdhsa_uses_dynamic_stack 0
		.amdhsa_system_sgpr_private_segment_wavefront_offset 0
		.amdhsa_system_sgpr_workgroup_id_x 1
		.amdhsa_system_sgpr_workgroup_id_y 0
		.amdhsa_system_sgpr_workgroup_id_z 1
		.amdhsa_system_sgpr_workgroup_info 0
		.amdhsa_system_vgpr_workitem_id 0
		.amdhsa_next_free_vgpr 10
		.amdhsa_next_free_sgpr 18
		.amdhsa_reserve_vcc 1
		.amdhsa_reserve_flat_scratch 0
		.amdhsa_float_round_mode_32 0
		.amdhsa_float_round_mode_16_64 0
		.amdhsa_float_denorm_mode_32 3
		.amdhsa_float_denorm_mode_16_64 3
		.amdhsa_dx10_clamp 1
		.amdhsa_ieee_mode 1
		.amdhsa_fp16_overflow 0
		.amdhsa_exception_fp_ieee_invalid_op 0
		.amdhsa_exception_fp_denorm_src 0
		.amdhsa_exception_fp_ieee_div_zero 0
		.amdhsa_exception_fp_ieee_overflow 0
		.amdhsa_exception_fp_ieee_underflow 0
		.amdhsa_exception_fp_ieee_inexact 0
		.amdhsa_exception_int_div_zero 0
	.end_amdhsa_kernel
	.section	.text._ZL22rocblas_saxpy_2_kernelILi256EfPKfPKDF16_PDF16_EviT1_lT2_llT3_lli,"axG",@progbits,_ZL22rocblas_saxpy_2_kernelILi256EfPKfPKDF16_PDF16_EviT1_lT2_llT3_lli,comdat
.Lfunc_end122:
	.size	_ZL22rocblas_saxpy_2_kernelILi256EfPKfPKDF16_PDF16_EviT1_lT2_llT3_lli, .Lfunc_end122-_ZL22rocblas_saxpy_2_kernelILi256EfPKfPKDF16_PDF16_EviT1_lT2_llT3_lli
                                        ; -- End function
	.set _ZL22rocblas_saxpy_2_kernelILi256EfPKfPKDF16_PDF16_EviT1_lT2_llT3_lli.num_vgpr, 10
	.set _ZL22rocblas_saxpy_2_kernelILi256EfPKfPKDF16_PDF16_EviT1_lT2_llT3_lli.num_agpr, 0
	.set _ZL22rocblas_saxpy_2_kernelILi256EfPKfPKDF16_PDF16_EviT1_lT2_llT3_lli.numbered_sgpr, 18
	.set _ZL22rocblas_saxpy_2_kernelILi256EfPKfPKDF16_PDF16_EviT1_lT2_llT3_lli.num_named_barrier, 0
	.set _ZL22rocblas_saxpy_2_kernelILi256EfPKfPKDF16_PDF16_EviT1_lT2_llT3_lli.private_seg_size, 0
	.set _ZL22rocblas_saxpy_2_kernelILi256EfPKfPKDF16_PDF16_EviT1_lT2_llT3_lli.uses_vcc, 1
	.set _ZL22rocblas_saxpy_2_kernelILi256EfPKfPKDF16_PDF16_EviT1_lT2_llT3_lli.uses_flat_scratch, 0
	.set _ZL22rocblas_saxpy_2_kernelILi256EfPKfPKDF16_PDF16_EviT1_lT2_llT3_lli.has_dyn_sized_stack, 0
	.set _ZL22rocblas_saxpy_2_kernelILi256EfPKfPKDF16_PDF16_EviT1_lT2_llT3_lli.has_recursion, 0
	.set _ZL22rocblas_saxpy_2_kernelILi256EfPKfPKDF16_PDF16_EviT1_lT2_llT3_lli.has_indirect_call, 0
	.section	.AMDGPU.csdata,"",@progbits
; Kernel info:
; codeLenInByte = 400
; TotalNumSgprs: 22
; NumVgprs: 10
; ScratchSize: 0
; MemoryBound: 0
; FloatMode: 240
; IeeeMode: 1
; LDSByteSize: 0 bytes/workgroup (compile time only)
; SGPRBlocks: 2
; VGPRBlocks: 2
; NumSGPRsForWavesPerEU: 22
; NumVGPRsForWavesPerEU: 10
; Occupancy: 10
; WaveLimiterHint : 0
; COMPUTE_PGM_RSRC2:SCRATCH_EN: 0
; COMPUTE_PGM_RSRC2:USER_SGPR: 6
; COMPUTE_PGM_RSRC2:TRAP_HANDLER: 0
; COMPUTE_PGM_RSRC2:TGID_X_EN: 1
; COMPUTE_PGM_RSRC2:TGID_Y_EN: 0
; COMPUTE_PGM_RSRC2:TGID_Z_EN: 1
; COMPUTE_PGM_RSRC2:TIDIG_COMP_CNT: 0
	.section	.text._ZL22rocblas_saxpy_2_kernelILi256EffPKDF16_PDF16_EviT1_lT2_llT3_lli,"axG",@progbits,_ZL22rocblas_saxpy_2_kernelILi256EffPKDF16_PDF16_EviT1_lT2_llT3_lli,comdat
	.globl	_ZL22rocblas_saxpy_2_kernelILi256EffPKDF16_PDF16_EviT1_lT2_llT3_lli ; -- Begin function _ZL22rocblas_saxpy_2_kernelILi256EffPKDF16_PDF16_EviT1_lT2_llT3_lli
	.p2align	8
	.type	_ZL22rocblas_saxpy_2_kernelILi256EffPKDF16_PDF16_EviT1_lT2_llT3_lli,@function
_ZL22rocblas_saxpy_2_kernelILi256EffPKDF16_PDF16_EviT1_lT2_llT3_lli: ; @_ZL22rocblas_saxpy_2_kernelILi256EffPKDF16_PDF16_EviT1_lT2_llT3_lli
; %bb.0:
	s_load_dwordx2 s[0:1], s[4:5], 0x0
	s_waitcnt lgkmcnt(0)
	v_cmp_eq_f32_e64 s[2:3], s1, 0
	s_and_b64 vcc, exec, s[2:3]
	s_cbranch_vccnz .LBB123_5
; %bb.1:
	s_load_dwordx2 s[2:3], s[4:5], 0x10
	s_load_dwordx4 s[8:11], s[4:5], 0x18
	s_load_dwordx2 s[16:17], s[4:5], 0x28
	s_load_dwordx4 s[12:15], s[4:5], 0x30
	v_lshlrev_b32_e32 v0, 1, v0
	v_lshl_or_b32 v0, s6, 9, v0
	s_waitcnt lgkmcnt(0)
	s_mul_i32 s4, s11, s7
	s_mul_hi_u32 s5, s10, s7
	s_add_i32 s5, s5, s4
	s_mul_i32 s4, s10, s7
	s_lshl_b64 s[4:5], s[4:5], 1
	s_add_u32 s4, s2, s4
	s_addc_u32 s5, s3, s5
	s_lshl_b64 s[2:3], s[8:9], 1
	s_add_u32 s6, s4, s2
	s_addc_u32 s8, s5, s3
	s_mul_i32 s2, s15, s7
	s_mul_hi_u32 s3, s14, s7
	s_add_i32 s3, s3, s2
	s_mul_i32 s2, s14, s7
	s_lshl_b64 s[2:3], s[2:3], 1
	s_add_u32 s4, s16, s2
	s_addc_u32 s5, s17, s3
	s_lshl_b64 s[2:3], s[12:13], 1
	s_add_u32 s7, s4, s2
	s_addc_u32 s9, s5, s3
	s_add_i32 s2, s0, -1
	v_mov_b32_e32 v1, 0
	s_ashr_i32 s3, s2, 31
	v_cmp_gt_i64_e32 vcc, s[2:3], v[0:1]
	v_lshlrev_b64 v[2:3], 1, v[0:1]
	s_and_saveexec_b64 s[4:5], vcc
	s_cbranch_execz .LBB123_3
; %bb.2:
	v_mov_b32_e32 v5, s9
	v_add_co_u32_e32 v4, vcc, s7, v2
	v_addc_co_u32_e32 v5, vcc, v5, v3, vcc
	v_mov_b32_e32 v7, s8
	v_add_co_u32_e32 v6, vcc, s6, v2
	v_addc_co_u32_e32 v7, vcc, v7, v3, vcc
	global_load_dword v8, v[4:5], off
	global_load_dword v9, v[6:7], off
	s_waitcnt vmcnt(0)
	v_fma_mixlo_f16 v6, s1, v9, v8 op_sel_hi:[0,1,1]
	v_fma_mixhi_f16 v6, s1, v9, v8 op_sel:[0,1,1] op_sel_hi:[0,1,1]
	global_store_dword v[4:5], v6, off
.LBB123_3:
	s_or_b64 exec, exec, s[4:5]
	s_bitcmp1_b32 s0, 0
	v_cmp_eq_u64_e32 vcc, s[2:3], v[0:1]
	s_cselect_b64 s[2:3], -1, 0
	s_and_b64 s[2:3], s[2:3], vcc
	s_and_saveexec_b64 s[4:5], s[2:3]
	s_cbranch_execz .LBB123_5
; %bb.4:
	v_mov_b32_e32 v1, s9
	v_add_co_u32_e32 v0, vcc, s7, v2
	v_addc_co_u32_e32 v1, vcc, v1, v3, vcc
	v_mov_b32_e32 v5, s8
	v_add_co_u32_e32 v2, vcc, s6, v2
	v_addc_co_u32_e32 v3, vcc, v5, v3, vcc
	global_load_ushort v4, v[0:1], off
	s_nop 0
	global_load_ushort v2, v[2:3], off
	s_waitcnt vmcnt(0)
	v_fma_mixlo_f16 v2, s1, v2, v4 op_sel_hi:[0,1,1]
	global_store_short v[0:1], v2, off
.LBB123_5:
	s_endpgm
	.section	.rodata,"a",@progbits
	.p2align	6, 0x0
	.amdhsa_kernel _ZL22rocblas_saxpy_2_kernelILi256EffPKDF16_PDF16_EviT1_lT2_llT3_lli
		.amdhsa_group_segment_fixed_size 0
		.amdhsa_private_segment_fixed_size 0
		.amdhsa_kernarg_size 68
		.amdhsa_user_sgpr_count 6
		.amdhsa_user_sgpr_private_segment_buffer 1
		.amdhsa_user_sgpr_dispatch_ptr 0
		.amdhsa_user_sgpr_queue_ptr 0
		.amdhsa_user_sgpr_kernarg_segment_ptr 1
		.amdhsa_user_sgpr_dispatch_id 0
		.amdhsa_user_sgpr_flat_scratch_init 0
		.amdhsa_user_sgpr_private_segment_size 0
		.amdhsa_uses_dynamic_stack 0
		.amdhsa_system_sgpr_private_segment_wavefront_offset 0
		.amdhsa_system_sgpr_workgroup_id_x 1
		.amdhsa_system_sgpr_workgroup_id_y 0
		.amdhsa_system_sgpr_workgroup_id_z 1
		.amdhsa_system_sgpr_workgroup_info 0
		.amdhsa_system_vgpr_workitem_id 0
		.amdhsa_next_free_vgpr 10
		.amdhsa_next_free_sgpr 18
		.amdhsa_reserve_vcc 1
		.amdhsa_reserve_flat_scratch 0
		.amdhsa_float_round_mode_32 0
		.amdhsa_float_round_mode_16_64 0
		.amdhsa_float_denorm_mode_32 3
		.amdhsa_float_denorm_mode_16_64 3
		.amdhsa_dx10_clamp 1
		.amdhsa_ieee_mode 1
		.amdhsa_fp16_overflow 0
		.amdhsa_exception_fp_ieee_invalid_op 0
		.amdhsa_exception_fp_denorm_src 0
		.amdhsa_exception_fp_ieee_div_zero 0
		.amdhsa_exception_fp_ieee_overflow 0
		.amdhsa_exception_fp_ieee_underflow 0
		.amdhsa_exception_fp_ieee_inexact 0
		.amdhsa_exception_int_div_zero 0
	.end_amdhsa_kernel
	.section	.text._ZL22rocblas_saxpy_2_kernelILi256EffPKDF16_PDF16_EviT1_lT2_llT3_lli,"axG",@progbits,_ZL22rocblas_saxpy_2_kernelILi256EffPKDF16_PDF16_EviT1_lT2_llT3_lli,comdat
.Lfunc_end123:
	.size	_ZL22rocblas_saxpy_2_kernelILi256EffPKDF16_PDF16_EviT1_lT2_llT3_lli, .Lfunc_end123-_ZL22rocblas_saxpy_2_kernelILi256EffPKDF16_PDF16_EviT1_lT2_llT3_lli
                                        ; -- End function
	.set _ZL22rocblas_saxpy_2_kernelILi256EffPKDF16_PDF16_EviT1_lT2_llT3_lli.num_vgpr, 10
	.set _ZL22rocblas_saxpy_2_kernelILi256EffPKDF16_PDF16_EviT1_lT2_llT3_lli.num_agpr, 0
	.set _ZL22rocblas_saxpy_2_kernelILi256EffPKDF16_PDF16_EviT1_lT2_llT3_lli.numbered_sgpr, 18
	.set _ZL22rocblas_saxpy_2_kernelILi256EffPKDF16_PDF16_EviT1_lT2_llT3_lli.num_named_barrier, 0
	.set _ZL22rocblas_saxpy_2_kernelILi256EffPKDF16_PDF16_EviT1_lT2_llT3_lli.private_seg_size, 0
	.set _ZL22rocblas_saxpy_2_kernelILi256EffPKDF16_PDF16_EviT1_lT2_llT3_lli.uses_vcc, 1
	.set _ZL22rocblas_saxpy_2_kernelILi256EffPKDF16_PDF16_EviT1_lT2_llT3_lli.uses_flat_scratch, 0
	.set _ZL22rocblas_saxpy_2_kernelILi256EffPKDF16_PDF16_EviT1_lT2_llT3_lli.has_dyn_sized_stack, 0
	.set _ZL22rocblas_saxpy_2_kernelILi256EffPKDF16_PDF16_EviT1_lT2_llT3_lli.has_recursion, 0
	.set _ZL22rocblas_saxpy_2_kernelILi256EffPKDF16_PDF16_EviT1_lT2_llT3_lli.has_indirect_call, 0
	.section	.AMDGPU.csdata,"",@progbits
; Kernel info:
; codeLenInByte = 352
; TotalNumSgprs: 22
; NumVgprs: 10
; ScratchSize: 0
; MemoryBound: 0
; FloatMode: 240
; IeeeMode: 1
; LDSByteSize: 0 bytes/workgroup (compile time only)
; SGPRBlocks: 2
; VGPRBlocks: 2
; NumSGPRsForWavesPerEU: 22
; NumVGPRsForWavesPerEU: 10
; Occupancy: 10
; WaveLimiterHint : 0
; COMPUTE_PGM_RSRC2:SCRATCH_EN: 0
; COMPUTE_PGM_RSRC2:USER_SGPR: 6
; COMPUTE_PGM_RSRC2:TRAP_HANDLER: 0
; COMPUTE_PGM_RSRC2:TGID_X_EN: 1
; COMPUTE_PGM_RSRC2:TGID_Y_EN: 0
; COMPUTE_PGM_RSRC2:TGID_Z_EN: 1
; COMPUTE_PGM_RSRC2:TIDIG_COMP_CNT: 0
	.section	.text._ZL27rocblas_axpy_kernel_batchedIiLi128ELi8EfPKfPKDF16_PDF16_EviT3_lT4_lT_lT5_lS7_li,"axG",@progbits,_ZL27rocblas_axpy_kernel_batchedIiLi128ELi8EfPKfPKDF16_PDF16_EviT3_lT4_lT_lT5_lS7_li,comdat
	.globl	_ZL27rocblas_axpy_kernel_batchedIiLi128ELi8EfPKfPKDF16_PDF16_EviT3_lT4_lT_lT5_lS7_li ; -- Begin function _ZL27rocblas_axpy_kernel_batchedIiLi128ELi8EfPKfPKDF16_PDF16_EviT3_lT4_lT_lT5_lS7_li
	.p2align	8
	.type	_ZL27rocblas_axpy_kernel_batchedIiLi128ELi8EfPKfPKDF16_PDF16_EviT3_lT4_lT_lT5_lS7_li,@function
_ZL27rocblas_axpy_kernel_batchedIiLi128ELi8EfPKfPKDF16_PDF16_EviT3_lT4_lT_lT5_lS7_li: ; @_ZL27rocblas_axpy_kernel_batchedIiLi128ELi8EfPKfPKDF16_PDF16_EviT3_lT4_lT_lT5_lS7_li
; %bb.0:
	s_load_dword s0, s[4:5], 0x0
	v_lshl_add_u32 v2, s6, 7, v0
	v_mov_b32_e32 v3, 0
	s_waitcnt lgkmcnt(0)
	s_ashr_i32 s1, s0, 31
	v_cmp_gt_i64_e32 vcc, s[0:1], v[2:3]
	s_and_saveexec_b64 s[0:1], vcc
	s_cbranch_execz .LBB124_13
; %bb.1:
	s_load_dword s20, s[4:5], 0x28
	s_load_dwordx8 s[8:15], s[4:5], 0x8
	s_load_dwordx4 s[0:3], s[4:5], 0x30
	s_load_dwordx2 s[18:19], s[4:5], 0x40
	s_load_dword s22, s[4:5], 0x48
	s_load_dwordx2 s[16:17], s[4:5], 0x50
	s_load_dword s6, s[4:5], 0x58
	s_waitcnt lgkmcnt(0)
	v_mad_u64_u32 v[5:6], s[4:5], s20, v2, 0
	v_mad_u64_u32 v[7:8], s[4:5], s22, v2, 0
	s_ashr_i32 s21, s20, 31
	v_mov_b32_e32 v0, v6
	v_mad_u64_u32 v[3:4], s[4:5], s21, v2, v[0:1]
	s_ashr_i32 s20, s22, 31
	v_mov_b32_e32 v0, v8
	v_mad_u64_u32 v[8:9], s[4:5], s20, v2, v[0:1]
	v_lshlrev_b32_e32 v0, 2, v1
	v_mov_b32_e32 v6, v3
	s_lshl_b64 s[4:5], s[14:15], 1
	v_lshl_add_u32 v4, s7, 5, v0
	s_add_u32 s4, s12, s4
	v_lshlrev_b64 v[0:1], 1, v[5:6]
	s_addc_u32 s5, s13, s5
	v_mov_b32_e32 v2, s5
	v_add_co_u32_e32 v0, vcc, s4, v0
	s_lshl_b64 s[4:5], s[18:19], 1
	v_addc_co_u32_e32 v1, vcc, v2, v1, vcc
	s_add_u32 s2, s2, s4
	v_lshlrev_b64 v[2:3], 1, v[7:8]
	s_addc_u32 s3, s3, s5
	v_mov_b32_e32 v5, s3
	v_add_co_u32_e32 v2, vcc, s2, v2
	v_addc_co_u32_e32 v3, vcc, v5, v3, vcc
	v_cmp_gt_u32_e32 vcc, s6, v4
	s_and_saveexec_b64 s[2:3], vcc
	s_cbranch_execz .LBB124_4
; %bb.2:
	v_mad_u64_u32 v[5:6], s[4:5], s10, v4, 0
	v_mad_u64_u32 v[6:7], s[4:5], s11, v4, v[6:7]
	v_mov_b32_e32 v7, s9
	v_lshlrev_b64 v[5:6], 2, v[5:6]
	v_add_co_u32_e32 v5, vcc, s8, v5
	v_addc_co_u32_e32 v6, vcc, v7, v6, vcc
	global_load_dword v5, v[5:6], off
	s_waitcnt vmcnt(0)
	v_cmp_neq_f32_e32 vcc, 0, v5
	s_and_b64 exec, exec, vcc
	s_cbranch_execz .LBB124_4
; %bb.3:
	v_mad_u64_u32 v[6:7], s[4:5], s0, v4, 0
	v_mad_u64_u32 v[8:9], s[4:5], s16, v4, 0
	v_mad_u64_u32 v[10:11], s[4:5], s1, v4, v[7:8]
	v_mov_b32_e32 v7, v10
	v_mad_u64_u32 v[9:10], s[4:5], s17, v4, v[9:10]
	v_lshlrev_b64 v[6:7], 1, v[6:7]
	v_add_co_u32_e32 v6, vcc, v0, v6
	v_lshlrev_b64 v[8:9], 1, v[8:9]
	v_addc_co_u32_e32 v7, vcc, v1, v7, vcc
	v_add_co_u32_e32 v8, vcc, v2, v8
	v_addc_co_u32_e32 v9, vcc, v3, v9, vcc
	global_load_ushort v10, v[8:9], off
	global_load_ushort v11, v[6:7], off
	s_waitcnt vmcnt(0)
	v_fma_mixlo_f16 v5, v5, v11, v10 op_sel_hi:[0,1,1]
	global_store_short v[8:9], v5, off
.LBB124_4:
	s_or_b64 exec, exec, s[2:3]
	v_or_b32_e32 v5, 1, v4
	v_cmp_gt_u32_e32 vcc, s6, v5
	s_and_saveexec_b64 s[2:3], vcc
	s_cbranch_execz .LBB124_7
; %bb.5:
	v_mad_u64_u32 v[6:7], s[4:5], s10, v5, 0
	v_mad_u64_u32 v[7:8], s[4:5], s11, v5, v[7:8]
	v_mov_b32_e32 v8, s9
	v_lshlrev_b64 v[6:7], 2, v[6:7]
	v_add_co_u32_e32 v6, vcc, s8, v6
	v_addc_co_u32_e32 v7, vcc, v8, v7, vcc
	global_load_dword v6, v[6:7], off
	s_waitcnt vmcnt(0)
	v_cmp_neq_f32_e32 vcc, 0, v6
	s_and_b64 exec, exec, vcc
	s_cbranch_execz .LBB124_7
; %bb.6:
	v_mad_u64_u32 v[7:8], s[4:5], s0, v5, 0
	v_mad_u64_u32 v[9:10], s[4:5], s16, v5, 0
	v_mad_u64_u32 v[11:12], s[4:5], s1, v5, v[8:9]
	v_mov_b32_e32 v8, v11
	v_mad_u64_u32 v[10:11], s[4:5], s17, v5, v[10:11]
	v_lshlrev_b64 v[7:8], 1, v[7:8]
	v_add_co_u32_e32 v7, vcc, v0, v7
	v_lshlrev_b64 v[9:10], 1, v[9:10]
	v_addc_co_u32_e32 v8, vcc, v1, v8, vcc
	v_add_co_u32_e32 v9, vcc, v2, v9
	v_addc_co_u32_e32 v10, vcc, v3, v10, vcc
	global_load_ushort v5, v[9:10], off
	global_load_ushort v11, v[7:8], off
	s_waitcnt vmcnt(0)
	v_fma_mixlo_f16 v5, v6, v11, v5 op_sel_hi:[0,1,1]
	global_store_short v[9:10], v5, off
.LBB124_7:
	s_or_b64 exec, exec, s[2:3]
	v_or_b32_e32 v5, 2, v4
	;; [unrolled: 35-line block ×3, first 2 shown]
	v_cmp_gt_u32_e32 vcc, s6, v4
	s_and_b64 exec, exec, vcc
	s_cbranch_execz .LBB124_13
; %bb.11:
	v_mad_u64_u32 v[5:6], s[2:3], s10, v4, 0
	v_mad_u64_u32 v[6:7], s[2:3], s11, v4, v[6:7]
	v_mov_b32_e32 v7, s9
	v_lshlrev_b64 v[5:6], 2, v[5:6]
	v_add_co_u32_e32 v5, vcc, s8, v5
	v_addc_co_u32_e32 v6, vcc, v7, v6, vcc
	global_load_dword v5, v[5:6], off
	s_waitcnt vmcnt(0)
	v_cmp_neq_f32_e32 vcc, 0, v5
	s_and_b64 exec, exec, vcc
	s_cbranch_execz .LBB124_13
; %bb.12:
	v_mad_u64_u32 v[6:7], s[2:3], s0, v4, 0
	v_mad_u64_u32 v[8:9], s[2:3], s16, v4, 0
	;; [unrolled: 1-line block ×3, first 2 shown]
	v_mov_b32_e32 v7, v10
	v_mad_u64_u32 v[9:10], s[0:1], s17, v4, v[9:10]
	v_lshlrev_b64 v[6:7], 1, v[6:7]
	v_add_co_u32_e32 v0, vcc, v0, v6
	v_addc_co_u32_e32 v1, vcc, v1, v7, vcc
	v_lshlrev_b64 v[6:7], 1, v[8:9]
	v_add_co_u32_e32 v2, vcc, v2, v6
	v_addc_co_u32_e32 v3, vcc, v3, v7, vcc
	global_load_ushort v4, v[2:3], off
	global_load_ushort v6, v[0:1], off
	s_waitcnt vmcnt(0)
	v_fma_mixlo_f16 v0, v5, v6, v4 op_sel_hi:[0,1,1]
	global_store_short v[2:3], v0, off
.LBB124_13:
	s_endpgm
	.section	.rodata,"a",@progbits
	.p2align	6, 0x0
	.amdhsa_kernel _ZL27rocblas_axpy_kernel_batchedIiLi128ELi8EfPKfPKDF16_PDF16_EviT3_lT4_lT_lT5_lS7_li
		.amdhsa_group_segment_fixed_size 0
		.amdhsa_private_segment_fixed_size 0
		.amdhsa_kernarg_size 92
		.amdhsa_user_sgpr_count 6
		.amdhsa_user_sgpr_private_segment_buffer 1
		.amdhsa_user_sgpr_dispatch_ptr 0
		.amdhsa_user_sgpr_queue_ptr 0
		.amdhsa_user_sgpr_kernarg_segment_ptr 1
		.amdhsa_user_sgpr_dispatch_id 0
		.amdhsa_user_sgpr_flat_scratch_init 0
		.amdhsa_user_sgpr_private_segment_size 0
		.amdhsa_uses_dynamic_stack 0
		.amdhsa_system_sgpr_private_segment_wavefront_offset 0
		.amdhsa_system_sgpr_workgroup_id_x 1
		.amdhsa_system_sgpr_workgroup_id_y 0
		.amdhsa_system_sgpr_workgroup_id_z 1
		.amdhsa_system_sgpr_workgroup_info 0
		.amdhsa_system_vgpr_workitem_id 1
		.amdhsa_next_free_vgpr 13
		.amdhsa_next_free_sgpr 23
		.amdhsa_reserve_vcc 1
		.amdhsa_reserve_flat_scratch 0
		.amdhsa_float_round_mode_32 0
		.amdhsa_float_round_mode_16_64 0
		.amdhsa_float_denorm_mode_32 3
		.amdhsa_float_denorm_mode_16_64 3
		.amdhsa_dx10_clamp 1
		.amdhsa_ieee_mode 1
		.amdhsa_fp16_overflow 0
		.amdhsa_exception_fp_ieee_invalid_op 0
		.amdhsa_exception_fp_denorm_src 0
		.amdhsa_exception_fp_ieee_div_zero 0
		.amdhsa_exception_fp_ieee_overflow 0
		.amdhsa_exception_fp_ieee_underflow 0
		.amdhsa_exception_fp_ieee_inexact 0
		.amdhsa_exception_int_div_zero 0
	.end_amdhsa_kernel
	.section	.text._ZL27rocblas_axpy_kernel_batchedIiLi128ELi8EfPKfPKDF16_PDF16_EviT3_lT4_lT_lT5_lS7_li,"axG",@progbits,_ZL27rocblas_axpy_kernel_batchedIiLi128ELi8EfPKfPKDF16_PDF16_EviT3_lT4_lT_lT5_lS7_li,comdat
.Lfunc_end124:
	.size	_ZL27rocblas_axpy_kernel_batchedIiLi128ELi8EfPKfPKDF16_PDF16_EviT3_lT4_lT_lT5_lS7_li, .Lfunc_end124-_ZL27rocblas_axpy_kernel_batchedIiLi128ELi8EfPKfPKDF16_PDF16_EviT3_lT4_lT_lT5_lS7_li
                                        ; -- End function
	.set _ZL27rocblas_axpy_kernel_batchedIiLi128ELi8EfPKfPKDF16_PDF16_EviT3_lT4_lT_lT5_lS7_li.num_vgpr, 13
	.set _ZL27rocblas_axpy_kernel_batchedIiLi128ELi8EfPKfPKDF16_PDF16_EviT3_lT4_lT_lT5_lS7_li.num_agpr, 0
	.set _ZL27rocblas_axpy_kernel_batchedIiLi128ELi8EfPKfPKDF16_PDF16_EviT3_lT4_lT_lT5_lS7_li.numbered_sgpr, 23
	.set _ZL27rocblas_axpy_kernel_batchedIiLi128ELi8EfPKfPKDF16_PDF16_EviT3_lT4_lT_lT5_lS7_li.num_named_barrier, 0
	.set _ZL27rocblas_axpy_kernel_batchedIiLi128ELi8EfPKfPKDF16_PDF16_EviT3_lT4_lT_lT5_lS7_li.private_seg_size, 0
	.set _ZL27rocblas_axpy_kernel_batchedIiLi128ELi8EfPKfPKDF16_PDF16_EviT3_lT4_lT_lT5_lS7_li.uses_vcc, 1
	.set _ZL27rocblas_axpy_kernel_batchedIiLi128ELi8EfPKfPKDF16_PDF16_EviT3_lT4_lT_lT5_lS7_li.uses_flat_scratch, 0
	.set _ZL27rocblas_axpy_kernel_batchedIiLi128ELi8EfPKfPKDF16_PDF16_EviT3_lT4_lT_lT5_lS7_li.has_dyn_sized_stack, 0
	.set _ZL27rocblas_axpy_kernel_batchedIiLi128ELi8EfPKfPKDF16_PDF16_EviT3_lT4_lT_lT5_lS7_li.has_recursion, 0
	.set _ZL27rocblas_axpy_kernel_batchedIiLi128ELi8EfPKfPKDF16_PDF16_EviT3_lT4_lT_lT5_lS7_li.has_indirect_call, 0
	.section	.AMDGPU.csdata,"",@progbits
; Kernel info:
; codeLenInByte = 960
; TotalNumSgprs: 27
; NumVgprs: 13
; ScratchSize: 0
; MemoryBound: 0
; FloatMode: 240
; IeeeMode: 1
; LDSByteSize: 0 bytes/workgroup (compile time only)
; SGPRBlocks: 3
; VGPRBlocks: 3
; NumSGPRsForWavesPerEU: 27
; NumVGPRsForWavesPerEU: 13
; Occupancy: 10
; WaveLimiterHint : 0
; COMPUTE_PGM_RSRC2:SCRATCH_EN: 0
; COMPUTE_PGM_RSRC2:USER_SGPR: 6
; COMPUTE_PGM_RSRC2:TRAP_HANDLER: 0
; COMPUTE_PGM_RSRC2:TGID_X_EN: 1
; COMPUTE_PGM_RSRC2:TGID_Y_EN: 0
; COMPUTE_PGM_RSRC2:TGID_Z_EN: 1
; COMPUTE_PGM_RSRC2:TIDIG_COMP_CNT: 1
	.section	.text._ZL27rocblas_axpy_kernel_batchedIiLi128ELi8EffPKDF16_PDF16_EviT3_lT4_lT_lT5_lS5_li,"axG",@progbits,_ZL27rocblas_axpy_kernel_batchedIiLi128ELi8EffPKDF16_PDF16_EviT3_lT4_lT_lT5_lS5_li,comdat
	.globl	_ZL27rocblas_axpy_kernel_batchedIiLi128ELi8EffPKDF16_PDF16_EviT3_lT4_lT_lT5_lS5_li ; -- Begin function _ZL27rocblas_axpy_kernel_batchedIiLi128ELi8EffPKDF16_PDF16_EviT3_lT4_lT_lT5_lS5_li
	.p2align	8
	.type	_ZL27rocblas_axpy_kernel_batchedIiLi128ELi8EffPKDF16_PDF16_EviT3_lT4_lT_lT5_lS5_li,@function
_ZL27rocblas_axpy_kernel_batchedIiLi128ELi8EffPKDF16_PDF16_EviT3_lT4_lT_lT5_lS5_li: ; @_ZL27rocblas_axpy_kernel_batchedIiLi128ELi8EffPKDF16_PDF16_EviT3_lT4_lT_lT5_lS5_li
; %bb.0:
	s_load_dwordx2 s[8:9], s[4:5], 0x0
	v_lshl_add_u32 v2, s6, 7, v0
	v_mov_b32_e32 v3, 0
	s_waitcnt lgkmcnt(0)
	s_ashr_i32 s1, s8, 31
	s_mov_b32 s0, s8
	v_cmp_gt_i64_e32 vcc, s[0:1], v[2:3]
	s_and_saveexec_b64 s[0:1], vcc
	s_cbranch_execz .LBB125_9
; %bb.1:
	s_load_dword s8, s[4:5], 0x20
	s_load_dwordx4 s[12:15], s[4:5], 0x10
	s_load_dwordx4 s[0:3], s[4:5], 0x28
	s_load_dwordx2 s[16:17], s[4:5], 0x38
	s_load_dword s19, s[4:5], 0x40
	s_load_dwordx2 s[10:11], s[4:5], 0x48
	s_load_dword s6, s[4:5], 0x50
	s_waitcnt lgkmcnt(0)
	v_mad_u64_u32 v[5:6], s[4:5], s8, v2, 0
	s_ashr_i32 s18, s8, 31
	v_mad_u64_u32 v[7:8], s[4:5], s19, v2, 0
	v_mov_b32_e32 v0, v6
	v_mad_u64_u32 v[3:4], s[4:5], s18, v2, v[0:1]
	s_ashr_i32 s8, s19, 31
	v_mov_b32_e32 v0, v8
	v_mad_u64_u32 v[8:9], s[4:5], s8, v2, v[0:1]
	v_lshlrev_b32_e32 v0, 2, v1
	v_mov_b32_e32 v6, v3
	s_lshl_b64 s[14:15], s[14:15], 1
	v_lshl_add_u32 v4, s7, 5, v0
	s_add_u32 s7, s12, s14
	v_lshlrev_b64 v[0:1], 1, v[5:6]
	s_addc_u32 s8, s13, s15
	v_mov_b32_e32 v2, s8
	v_add_co_u32_e32 v0, vcc, s7, v0
	s_lshl_b64 s[12:13], s[16:17], 1
	v_addc_co_u32_e32 v1, vcc, v2, v1, vcc
	s_add_u32 s2, s2, s12
	v_lshlrev_b64 v[2:3], 1, v[7:8]
	s_addc_u32 s3, s3, s13
	v_mov_b32_e32 v5, s3
	v_add_co_u32_e32 v2, vcc, s2, v2
	v_addc_co_u32_e32 v3, vcc, v5, v3, vcc
	v_cmp_neq_f32_e64 s[4:5], s9, 0
	v_cmp_gt_u32_e32 vcc, s6, v4
	s_and_b64 s[12:13], s[4:5], vcc
	s_and_saveexec_b64 s[2:3], s[12:13]
	s_cbranch_execz .LBB125_3
; %bb.2:
	v_mad_u64_u32 v[5:6], s[12:13], s0, v4, 0
	v_mad_u64_u32 v[7:8], s[12:13], s10, v4, 0
	;; [unrolled: 1-line block ×3, first 2 shown]
	v_mov_b32_e32 v6, v9
	v_mad_u64_u32 v[8:9], s[12:13], s11, v4, v[8:9]
	v_lshlrev_b64 v[5:6], 1, v[5:6]
	v_add_co_u32_e32 v5, vcc, v0, v5
	v_lshlrev_b64 v[7:8], 1, v[7:8]
	v_addc_co_u32_e32 v6, vcc, v1, v6, vcc
	v_add_co_u32_e32 v7, vcc, v2, v7
	v_addc_co_u32_e32 v8, vcc, v3, v8, vcc
	global_load_ushort v9, v[7:8], off
	global_load_ushort v10, v[5:6], off
	s_waitcnt vmcnt(0)
	v_fma_mixlo_f16 v5, s9, v10, v9 op_sel_hi:[0,1,1]
	global_store_short v[7:8], v5, off
.LBB125_3:
	s_or_b64 exec, exec, s[2:3]
	v_or_b32_e32 v5, 1, v4
	v_cmp_gt_u32_e32 vcc, s6, v5
	s_and_b64 s[12:13], s[4:5], vcc
	s_and_saveexec_b64 s[2:3], s[12:13]
	s_cbranch_execz .LBB125_5
; %bb.4:
	v_mad_u64_u32 v[6:7], s[12:13], s0, v5, 0
	v_mad_u64_u32 v[8:9], s[12:13], s10, v5, 0
	;; [unrolled: 1-line block ×3, first 2 shown]
	v_mov_b32_e32 v7, v10
	v_mad_u64_u32 v[9:10], s[12:13], s11, v5, v[9:10]
	v_lshlrev_b64 v[6:7], 1, v[6:7]
	v_add_co_u32_e32 v5, vcc, v0, v6
	v_addc_co_u32_e32 v6, vcc, v1, v7, vcc
	v_lshlrev_b64 v[7:8], 1, v[8:9]
	v_add_co_u32_e32 v7, vcc, v2, v7
	v_addc_co_u32_e32 v8, vcc, v3, v8, vcc
	global_load_ushort v9, v[7:8], off
	global_load_ushort v10, v[5:6], off
	s_waitcnt vmcnt(0)
	v_fma_mixlo_f16 v5, s9, v10, v9 op_sel_hi:[0,1,1]
	global_store_short v[7:8], v5, off
.LBB125_5:
	s_or_b64 exec, exec, s[2:3]
	v_or_b32_e32 v5, 2, v4
	v_cmp_gt_u32_e32 vcc, s6, v5
	s_and_b64 s[12:13], s[4:5], vcc
	s_and_saveexec_b64 s[2:3], s[12:13]
	s_cbranch_execz .LBB125_7
; %bb.6:
	v_mad_u64_u32 v[6:7], s[12:13], s0, v5, 0
	v_mad_u64_u32 v[8:9], s[12:13], s10, v5, 0
	;; [unrolled: 1-line block ×3, first 2 shown]
	v_mov_b32_e32 v7, v10
	v_mad_u64_u32 v[9:10], s[12:13], s11, v5, v[9:10]
	v_lshlrev_b64 v[6:7], 1, v[6:7]
	v_add_co_u32_e32 v5, vcc, v0, v6
	v_addc_co_u32_e32 v6, vcc, v1, v7, vcc
	v_lshlrev_b64 v[7:8], 1, v[8:9]
	v_add_co_u32_e32 v7, vcc, v2, v7
	v_addc_co_u32_e32 v8, vcc, v3, v8, vcc
	global_load_ushort v9, v[7:8], off
	global_load_ushort v10, v[5:6], off
	s_waitcnt vmcnt(0)
	v_fma_mixlo_f16 v5, s9, v10, v9 op_sel_hi:[0,1,1]
	global_store_short v[7:8], v5, off
.LBB125_7:
	s_or_b64 exec, exec, s[2:3]
	v_or_b32_e32 v4, 3, v4
	v_cmp_gt_u32_e32 vcc, s6, v4
	s_and_b64 s[2:3], s[4:5], vcc
	s_and_b64 exec, exec, s[2:3]
	s_cbranch_execz .LBB125_9
; %bb.8:
	v_mad_u64_u32 v[5:6], s[2:3], s0, v4, 0
	v_mad_u64_u32 v[7:8], s[2:3], s10, v4, 0
	;; [unrolled: 1-line block ×3, first 2 shown]
	v_mov_b32_e32 v6, v9
	v_mad_u64_u32 v[8:9], s[0:1], s11, v4, v[8:9]
	v_lshlrev_b64 v[5:6], 1, v[5:6]
	v_add_co_u32_e32 v0, vcc, v0, v5
	v_lshlrev_b64 v[4:5], 1, v[7:8]
	v_addc_co_u32_e32 v1, vcc, v1, v6, vcc
	v_add_co_u32_e32 v2, vcc, v2, v4
	v_addc_co_u32_e32 v3, vcc, v3, v5, vcc
	global_load_ushort v4, v[2:3], off
	global_load_ushort v5, v[0:1], off
	s_waitcnt vmcnt(0)
	v_fma_mixlo_f16 v0, s9, v5, v4 op_sel_hi:[0,1,1]
	global_store_short v[2:3], v0, off
.LBB125_9:
	s_endpgm
	.section	.rodata,"a",@progbits
	.p2align	6, 0x0
	.amdhsa_kernel _ZL27rocblas_axpy_kernel_batchedIiLi128ELi8EffPKDF16_PDF16_EviT3_lT4_lT_lT5_lS5_li
		.amdhsa_group_segment_fixed_size 0
		.amdhsa_private_segment_fixed_size 0
		.amdhsa_kernarg_size 84
		.amdhsa_user_sgpr_count 6
		.amdhsa_user_sgpr_private_segment_buffer 1
		.amdhsa_user_sgpr_dispatch_ptr 0
		.amdhsa_user_sgpr_queue_ptr 0
		.amdhsa_user_sgpr_kernarg_segment_ptr 1
		.amdhsa_user_sgpr_dispatch_id 0
		.amdhsa_user_sgpr_flat_scratch_init 0
		.amdhsa_user_sgpr_private_segment_size 0
		.amdhsa_uses_dynamic_stack 0
		.amdhsa_system_sgpr_private_segment_wavefront_offset 0
		.amdhsa_system_sgpr_workgroup_id_x 1
		.amdhsa_system_sgpr_workgroup_id_y 0
		.amdhsa_system_sgpr_workgroup_id_z 1
		.amdhsa_system_sgpr_workgroup_info 0
		.amdhsa_system_vgpr_workitem_id 1
		.amdhsa_next_free_vgpr 12
		.amdhsa_next_free_sgpr 20
		.amdhsa_reserve_vcc 1
		.amdhsa_reserve_flat_scratch 0
		.amdhsa_float_round_mode_32 0
		.amdhsa_float_round_mode_16_64 0
		.amdhsa_float_denorm_mode_32 3
		.amdhsa_float_denorm_mode_16_64 3
		.amdhsa_dx10_clamp 1
		.amdhsa_ieee_mode 1
		.amdhsa_fp16_overflow 0
		.amdhsa_exception_fp_ieee_invalid_op 0
		.amdhsa_exception_fp_denorm_src 0
		.amdhsa_exception_fp_ieee_div_zero 0
		.amdhsa_exception_fp_ieee_overflow 0
		.amdhsa_exception_fp_ieee_underflow 0
		.amdhsa_exception_fp_ieee_inexact 0
		.amdhsa_exception_int_div_zero 0
	.end_amdhsa_kernel
	.section	.text._ZL27rocblas_axpy_kernel_batchedIiLi128ELi8EffPKDF16_PDF16_EviT3_lT4_lT_lT5_lS5_li,"axG",@progbits,_ZL27rocblas_axpy_kernel_batchedIiLi128ELi8EffPKDF16_PDF16_EviT3_lT4_lT_lT5_lS5_li,comdat
.Lfunc_end125:
	.size	_ZL27rocblas_axpy_kernel_batchedIiLi128ELi8EffPKDF16_PDF16_EviT3_lT4_lT_lT5_lS5_li, .Lfunc_end125-_ZL27rocblas_axpy_kernel_batchedIiLi128ELi8EffPKDF16_PDF16_EviT3_lT4_lT_lT5_lS5_li
                                        ; -- End function
	.set _ZL27rocblas_axpy_kernel_batchedIiLi128ELi8EffPKDF16_PDF16_EviT3_lT4_lT_lT5_lS5_li.num_vgpr, 12
	.set _ZL27rocblas_axpy_kernel_batchedIiLi128ELi8EffPKDF16_PDF16_EviT3_lT4_lT_lT5_lS5_li.num_agpr, 0
	.set _ZL27rocblas_axpy_kernel_batchedIiLi128ELi8EffPKDF16_PDF16_EviT3_lT4_lT_lT5_lS5_li.numbered_sgpr, 20
	.set _ZL27rocblas_axpy_kernel_batchedIiLi128ELi8EffPKDF16_PDF16_EviT3_lT4_lT_lT5_lS5_li.num_named_barrier, 0
	.set _ZL27rocblas_axpy_kernel_batchedIiLi128ELi8EffPKDF16_PDF16_EviT3_lT4_lT_lT5_lS5_li.private_seg_size, 0
	.set _ZL27rocblas_axpy_kernel_batchedIiLi128ELi8EffPKDF16_PDF16_EviT3_lT4_lT_lT5_lS5_li.uses_vcc, 1
	.set _ZL27rocblas_axpy_kernel_batchedIiLi128ELi8EffPKDF16_PDF16_EviT3_lT4_lT_lT5_lS5_li.uses_flat_scratch, 0
	.set _ZL27rocblas_axpy_kernel_batchedIiLi128ELi8EffPKDF16_PDF16_EviT3_lT4_lT_lT5_lS5_li.has_dyn_sized_stack, 0
	.set _ZL27rocblas_axpy_kernel_batchedIiLi128ELi8EffPKDF16_PDF16_EviT3_lT4_lT_lT5_lS5_li.has_recursion, 0
	.set _ZL27rocblas_axpy_kernel_batchedIiLi128ELi8EffPKDF16_PDF16_EviT3_lT4_lT_lT5_lS5_li.has_indirect_call, 0
	.section	.AMDGPU.csdata,"",@progbits
; Kernel info:
; codeLenInByte = 748
; TotalNumSgprs: 24
; NumVgprs: 12
; ScratchSize: 0
; MemoryBound: 0
; FloatMode: 240
; IeeeMode: 1
; LDSByteSize: 0 bytes/workgroup (compile time only)
; SGPRBlocks: 2
; VGPRBlocks: 2
; NumSGPRsForWavesPerEU: 24
; NumVGPRsForWavesPerEU: 12
; Occupancy: 10
; WaveLimiterHint : 0
; COMPUTE_PGM_RSRC2:SCRATCH_EN: 0
; COMPUTE_PGM_RSRC2:USER_SGPR: 6
; COMPUTE_PGM_RSRC2:TRAP_HANDLER: 0
; COMPUTE_PGM_RSRC2:TGID_X_EN: 1
; COMPUTE_PGM_RSRC2:TGID_Y_EN: 0
; COMPUTE_PGM_RSRC2:TGID_Z_EN: 1
; COMPUTE_PGM_RSRC2:TIDIG_COMP_CNT: 1
	.section	.text._ZL19rocblas_axpy_kernelIiLi256EfPKfPKDF16_PDF16_EviT2_lT3_lT_lT4_lS7_li,"axG",@progbits,_ZL19rocblas_axpy_kernelIiLi256EfPKfPKDF16_PDF16_EviT2_lT3_lT_lT4_lS7_li,comdat
	.globl	_ZL19rocblas_axpy_kernelIiLi256EfPKfPKDF16_PDF16_EviT2_lT3_lT_lT4_lS7_li ; -- Begin function _ZL19rocblas_axpy_kernelIiLi256EfPKfPKDF16_PDF16_EviT2_lT3_lT_lT4_lS7_li
	.p2align	8
	.type	_ZL19rocblas_axpy_kernelIiLi256EfPKfPKDF16_PDF16_EviT2_lT3_lT_lT4_lS7_li,@function
_ZL19rocblas_axpy_kernelIiLi256EfPKfPKDF16_PDF16_EviT2_lT3_lT_lT4_lS7_li: ; @_ZL19rocblas_axpy_kernelIiLi256EfPKfPKDF16_PDF16_EviT2_lT3_lT_lT4_lS7_li
; %bb.0:
	s_load_dword s10, s[4:5], 0x0
	s_load_dwordx4 s[0:3], s[4:5], 0x8
	v_lshl_or_b32 v0, s6, 8, v0
	v_mov_b32_e32 v1, 0
	s_waitcnt lgkmcnt(0)
	s_ashr_i32 s11, s10, 31
	s_mul_i32 s3, s3, s7
	s_mul_hi_u32 s8, s2, s7
	s_add_i32 s3, s8, s3
	s_mul_i32 s2, s2, s7
	s_lshl_b64 s[2:3], s[2:3], 2
	s_add_u32 s0, s0, s2
	s_addc_u32 s1, s1, s3
	s_load_dword s8, s[0:1], 0x0
	v_cmp_gt_i64_e32 vcc, s[10:11], v[0:1]
	s_waitcnt lgkmcnt(0)
	v_cmp_neq_f32_e64 s[0:1], s8, 0
	s_and_b64 s[0:1], vcc, s[0:1]
	s_and_saveexec_b64 s[2:3], s[0:1]
	s_cbranch_execz .LBB126_2
; %bb.1:
	s_load_dword s6, s[4:5], 0x28
	s_load_dwordx4 s[12:15], s[4:5], 0x18
	s_waitcnt lgkmcnt(0)
	v_mad_u64_u32 v[1:2], s[0:1], s6, v0, 0
	s_load_dwordx4 s[0:3], s[4:5], 0x30
	s_load_dwordx2 s[10:11], s[4:5], 0x40
	s_load_dword s9, s[4:5], 0x48
	s_ashr_i32 s6, s6, 31
	v_mad_u64_u32 v[2:3], s[16:17], s6, v0, v[2:3]
	s_waitcnt lgkmcnt(0)
	s_mul_i32 s1, s1, s7
	s_mul_hi_u32 s16, s0, s7
	s_add_i32 s1, s16, s1
	s_mul_i32 s0, s0, s7
	s_ashr_i32 s6, s9, 31
	s_lshl_b64 s[0:1], s[0:1], 1
	s_add_u32 s12, s12, s0
	s_addc_u32 s16, s13, s1
	s_lshl_b64 s[0:1], s[14:15], 1
	s_load_dwordx2 s[4:5], s[4:5], 0x50
	s_add_u32 s14, s12, s0
	v_mad_u64_u32 v[3:4], s[12:13], s9, v0, 0
	s_addc_u32 s0, s16, s1
	v_mov_b32_e32 v6, s0
	v_mad_u64_u32 v[4:5], s[0:1], s6, v0, v[4:5]
	s_waitcnt lgkmcnt(0)
	s_mul_i32 s0, s5, s7
	s_mul_hi_u32 s1, s4, s7
	s_add_i32 s1, s1, s0
	s_mul_i32 s0, s4, s7
	v_lshlrev_b64 v[1:2], 1, v[1:2]
	s_lshl_b64 s[0:1], s[0:1], 1
	s_add_u32 s2, s2, s0
	v_add_co_u32_e32 v0, vcc, s14, v1
	s_addc_u32 s3, s3, s1
	s_lshl_b64 s[0:1], s[10:11], 1
	v_addc_co_u32_e32 v1, vcc, v6, v2, vcc
	s_add_u32 s0, s2, s0
	v_lshlrev_b64 v[2:3], 1, v[3:4]
	s_addc_u32 s1, s3, s1
	v_mov_b32_e32 v4, s1
	v_add_co_u32_e32 v2, vcc, s0, v2
	v_addc_co_u32_e32 v3, vcc, v4, v3, vcc
	global_load_ushort v4, v[2:3], off
	global_load_ushort v5, v[0:1], off
	s_waitcnt vmcnt(0)
	v_fma_mixlo_f16 v0, s8, v5, v4 op_sel_hi:[0,1,1]
	global_store_short v[2:3], v0, off
.LBB126_2:
	s_endpgm
	.section	.rodata,"a",@progbits
	.p2align	6, 0x0
	.amdhsa_kernel _ZL19rocblas_axpy_kernelIiLi256EfPKfPKDF16_PDF16_EviT2_lT3_lT_lT4_lS7_li
		.amdhsa_group_segment_fixed_size 0
		.amdhsa_private_segment_fixed_size 0
		.amdhsa_kernarg_size 92
		.amdhsa_user_sgpr_count 6
		.amdhsa_user_sgpr_private_segment_buffer 1
		.amdhsa_user_sgpr_dispatch_ptr 0
		.amdhsa_user_sgpr_queue_ptr 0
		.amdhsa_user_sgpr_kernarg_segment_ptr 1
		.amdhsa_user_sgpr_dispatch_id 0
		.amdhsa_user_sgpr_flat_scratch_init 0
		.amdhsa_user_sgpr_private_segment_size 0
		.amdhsa_uses_dynamic_stack 0
		.amdhsa_system_sgpr_private_segment_wavefront_offset 0
		.amdhsa_system_sgpr_workgroup_id_x 1
		.amdhsa_system_sgpr_workgroup_id_y 0
		.amdhsa_system_sgpr_workgroup_id_z 1
		.amdhsa_system_sgpr_workgroup_info 0
		.amdhsa_system_vgpr_workitem_id 0
		.amdhsa_next_free_vgpr 7
		.amdhsa_next_free_sgpr 18
		.amdhsa_reserve_vcc 1
		.amdhsa_reserve_flat_scratch 0
		.amdhsa_float_round_mode_32 0
		.amdhsa_float_round_mode_16_64 0
		.amdhsa_float_denorm_mode_32 3
		.amdhsa_float_denorm_mode_16_64 3
		.amdhsa_dx10_clamp 1
		.amdhsa_ieee_mode 1
		.amdhsa_fp16_overflow 0
		.amdhsa_exception_fp_ieee_invalid_op 0
		.amdhsa_exception_fp_denorm_src 0
		.amdhsa_exception_fp_ieee_div_zero 0
		.amdhsa_exception_fp_ieee_overflow 0
		.amdhsa_exception_fp_ieee_underflow 0
		.amdhsa_exception_fp_ieee_inexact 0
		.amdhsa_exception_int_div_zero 0
	.end_amdhsa_kernel
	.section	.text._ZL19rocblas_axpy_kernelIiLi256EfPKfPKDF16_PDF16_EviT2_lT3_lT_lT4_lS7_li,"axG",@progbits,_ZL19rocblas_axpy_kernelIiLi256EfPKfPKDF16_PDF16_EviT2_lT3_lT_lT4_lS7_li,comdat
.Lfunc_end126:
	.size	_ZL19rocblas_axpy_kernelIiLi256EfPKfPKDF16_PDF16_EviT2_lT3_lT_lT4_lS7_li, .Lfunc_end126-_ZL19rocblas_axpy_kernelIiLi256EfPKfPKDF16_PDF16_EviT2_lT3_lT_lT4_lS7_li
                                        ; -- End function
	.set _ZL19rocblas_axpy_kernelIiLi256EfPKfPKDF16_PDF16_EviT2_lT3_lT_lT4_lS7_li.num_vgpr, 7
	.set _ZL19rocblas_axpy_kernelIiLi256EfPKfPKDF16_PDF16_EviT2_lT3_lT_lT4_lS7_li.num_agpr, 0
	.set _ZL19rocblas_axpy_kernelIiLi256EfPKfPKDF16_PDF16_EviT2_lT3_lT_lT4_lS7_li.numbered_sgpr, 18
	.set _ZL19rocblas_axpy_kernelIiLi256EfPKfPKDF16_PDF16_EviT2_lT3_lT_lT4_lS7_li.num_named_barrier, 0
	.set _ZL19rocblas_axpy_kernelIiLi256EfPKfPKDF16_PDF16_EviT2_lT3_lT_lT4_lS7_li.private_seg_size, 0
	.set _ZL19rocblas_axpy_kernelIiLi256EfPKfPKDF16_PDF16_EviT2_lT3_lT_lT4_lS7_li.uses_vcc, 1
	.set _ZL19rocblas_axpy_kernelIiLi256EfPKfPKDF16_PDF16_EviT2_lT3_lT_lT4_lS7_li.uses_flat_scratch, 0
	.set _ZL19rocblas_axpy_kernelIiLi256EfPKfPKDF16_PDF16_EviT2_lT3_lT_lT4_lS7_li.has_dyn_sized_stack, 0
	.set _ZL19rocblas_axpy_kernelIiLi256EfPKfPKDF16_PDF16_EviT2_lT3_lT_lT4_lS7_li.has_recursion, 0
	.set _ZL19rocblas_axpy_kernelIiLi256EfPKfPKDF16_PDF16_EviT2_lT3_lT_lT4_lS7_li.has_indirect_call, 0
	.section	.AMDGPU.csdata,"",@progbits
; Kernel info:
; codeLenInByte = 360
; TotalNumSgprs: 22
; NumVgprs: 7
; ScratchSize: 0
; MemoryBound: 0
; FloatMode: 240
; IeeeMode: 1
; LDSByteSize: 0 bytes/workgroup (compile time only)
; SGPRBlocks: 2
; VGPRBlocks: 1
; NumSGPRsForWavesPerEU: 22
; NumVGPRsForWavesPerEU: 7
; Occupancy: 10
; WaveLimiterHint : 0
; COMPUTE_PGM_RSRC2:SCRATCH_EN: 0
; COMPUTE_PGM_RSRC2:USER_SGPR: 6
; COMPUTE_PGM_RSRC2:TRAP_HANDLER: 0
; COMPUTE_PGM_RSRC2:TGID_X_EN: 1
; COMPUTE_PGM_RSRC2:TGID_Y_EN: 0
; COMPUTE_PGM_RSRC2:TGID_Z_EN: 1
; COMPUTE_PGM_RSRC2:TIDIG_COMP_CNT: 0
	.section	.text._ZL19rocblas_axpy_kernelIiLi256EffPKDF16_PDF16_EviT2_lT3_lT_lT4_lS5_li,"axG",@progbits,_ZL19rocblas_axpy_kernelIiLi256EffPKDF16_PDF16_EviT2_lT3_lT_lT4_lS5_li,comdat
	.globl	_ZL19rocblas_axpy_kernelIiLi256EffPKDF16_PDF16_EviT2_lT3_lT_lT4_lS5_li ; -- Begin function _ZL19rocblas_axpy_kernelIiLi256EffPKDF16_PDF16_EviT2_lT3_lT_lT4_lS5_li
	.p2align	8
	.type	_ZL19rocblas_axpy_kernelIiLi256EffPKDF16_PDF16_EviT2_lT3_lT_lT4_lS5_li,@function
_ZL19rocblas_axpy_kernelIiLi256EffPKDF16_PDF16_EviT2_lT3_lT_lT4_lS5_li: ; @_ZL19rocblas_axpy_kernelIiLi256EffPKDF16_PDF16_EviT2_lT3_lT_lT4_lS5_li
; %bb.0:
	s_load_dwordx2 s[8:9], s[4:5], 0x0
	v_lshl_or_b32 v0, s6, 8, v0
	v_mov_b32_e32 v1, 0
	s_waitcnt lgkmcnt(0)
	s_ashr_i32 s1, s8, 31
	s_mov_b32 s0, s8
	v_cmp_gt_i64_e32 vcc, s[0:1], v[0:1]
	v_cmp_neq_f32_e64 s[0:1], s9, 0
	s_and_b64 s[0:1], s[0:1], vcc
	s_and_saveexec_b64 s[2:3], s[0:1]
	s_cbranch_execz .LBB127_2
; %bb.1:
	s_load_dword s6, s[4:5], 0x20
	s_load_dwordx4 s[12:15], s[4:5], 0x10
	s_waitcnt lgkmcnt(0)
	v_mad_u64_u32 v[1:2], s[0:1], s6, v0, 0
	s_load_dwordx4 s[0:3], s[4:5], 0x28
	s_load_dwordx2 s[10:11], s[4:5], 0x38
	s_load_dword s8, s[4:5], 0x40
	s_ashr_i32 s6, s6, 31
	v_mad_u64_u32 v[2:3], s[16:17], s6, v0, v[2:3]
	s_waitcnt lgkmcnt(0)
	s_mul_i32 s1, s1, s7
	s_mul_hi_u32 s16, s0, s7
	s_add_i32 s1, s16, s1
	s_mul_i32 s0, s0, s7
	s_ashr_i32 s6, s8, 31
	s_lshl_b64 s[0:1], s[0:1], 1
	s_add_u32 s12, s12, s0
	s_addc_u32 s16, s13, s1
	s_lshl_b64 s[0:1], s[14:15], 1
	s_load_dwordx2 s[4:5], s[4:5], 0x48
	s_add_u32 s14, s12, s0
	v_mad_u64_u32 v[3:4], s[12:13], s8, v0, 0
	s_addc_u32 s0, s16, s1
	v_mov_b32_e32 v6, s0
	v_mad_u64_u32 v[4:5], s[0:1], s6, v0, v[4:5]
	s_waitcnt lgkmcnt(0)
	s_mul_i32 s0, s5, s7
	s_mul_hi_u32 s1, s4, s7
	s_add_i32 s1, s1, s0
	s_mul_i32 s0, s4, s7
	v_lshlrev_b64 v[1:2], 1, v[1:2]
	s_lshl_b64 s[0:1], s[0:1], 1
	s_add_u32 s2, s2, s0
	v_add_co_u32_e32 v0, vcc, s14, v1
	s_addc_u32 s3, s3, s1
	s_lshl_b64 s[0:1], s[10:11], 1
	v_addc_co_u32_e32 v1, vcc, v6, v2, vcc
	s_add_u32 s0, s2, s0
	v_lshlrev_b64 v[2:3], 1, v[3:4]
	s_addc_u32 s1, s3, s1
	v_mov_b32_e32 v4, s1
	v_add_co_u32_e32 v2, vcc, s0, v2
	v_addc_co_u32_e32 v3, vcc, v4, v3, vcc
	global_load_ushort v4, v[2:3], off
	global_load_ushort v5, v[0:1], off
	s_waitcnt vmcnt(0)
	v_fma_mixlo_f16 v0, s9, v5, v4 op_sel_hi:[0,1,1]
	global_store_short v[2:3], v0, off
.LBB127_2:
	s_endpgm
	.section	.rodata,"a",@progbits
	.p2align	6, 0x0
	.amdhsa_kernel _ZL19rocblas_axpy_kernelIiLi256EffPKDF16_PDF16_EviT2_lT3_lT_lT4_lS5_li
		.amdhsa_group_segment_fixed_size 0
		.amdhsa_private_segment_fixed_size 0
		.amdhsa_kernarg_size 84
		.amdhsa_user_sgpr_count 6
		.amdhsa_user_sgpr_private_segment_buffer 1
		.amdhsa_user_sgpr_dispatch_ptr 0
		.amdhsa_user_sgpr_queue_ptr 0
		.amdhsa_user_sgpr_kernarg_segment_ptr 1
		.amdhsa_user_sgpr_dispatch_id 0
		.amdhsa_user_sgpr_flat_scratch_init 0
		.amdhsa_user_sgpr_private_segment_size 0
		.amdhsa_uses_dynamic_stack 0
		.amdhsa_system_sgpr_private_segment_wavefront_offset 0
		.amdhsa_system_sgpr_workgroup_id_x 1
		.amdhsa_system_sgpr_workgroup_id_y 0
		.amdhsa_system_sgpr_workgroup_id_z 1
		.amdhsa_system_sgpr_workgroup_info 0
		.amdhsa_system_vgpr_workitem_id 0
		.amdhsa_next_free_vgpr 7
		.amdhsa_next_free_sgpr 18
		.amdhsa_reserve_vcc 1
		.amdhsa_reserve_flat_scratch 0
		.amdhsa_float_round_mode_32 0
		.amdhsa_float_round_mode_16_64 0
		.amdhsa_float_denorm_mode_32 3
		.amdhsa_float_denorm_mode_16_64 3
		.amdhsa_dx10_clamp 1
		.amdhsa_ieee_mode 1
		.amdhsa_fp16_overflow 0
		.amdhsa_exception_fp_ieee_invalid_op 0
		.amdhsa_exception_fp_denorm_src 0
		.amdhsa_exception_fp_ieee_div_zero 0
		.amdhsa_exception_fp_ieee_overflow 0
		.amdhsa_exception_fp_ieee_underflow 0
		.amdhsa_exception_fp_ieee_inexact 0
		.amdhsa_exception_int_div_zero 0
	.end_amdhsa_kernel
	.section	.text._ZL19rocblas_axpy_kernelIiLi256EffPKDF16_PDF16_EviT2_lT3_lT_lT4_lS5_li,"axG",@progbits,_ZL19rocblas_axpy_kernelIiLi256EffPKDF16_PDF16_EviT2_lT3_lT_lT4_lS5_li,comdat
.Lfunc_end127:
	.size	_ZL19rocblas_axpy_kernelIiLi256EffPKDF16_PDF16_EviT2_lT3_lT_lT4_lS5_li, .Lfunc_end127-_ZL19rocblas_axpy_kernelIiLi256EffPKDF16_PDF16_EviT2_lT3_lT_lT4_lS5_li
                                        ; -- End function
	.set _ZL19rocblas_axpy_kernelIiLi256EffPKDF16_PDF16_EviT2_lT3_lT_lT4_lS5_li.num_vgpr, 7
	.set _ZL19rocblas_axpy_kernelIiLi256EffPKDF16_PDF16_EviT2_lT3_lT_lT4_lS5_li.num_agpr, 0
	.set _ZL19rocblas_axpy_kernelIiLi256EffPKDF16_PDF16_EviT2_lT3_lT_lT4_lS5_li.numbered_sgpr, 18
	.set _ZL19rocblas_axpy_kernelIiLi256EffPKDF16_PDF16_EviT2_lT3_lT_lT4_lS5_li.num_named_barrier, 0
	.set _ZL19rocblas_axpy_kernelIiLi256EffPKDF16_PDF16_EviT2_lT3_lT_lT4_lS5_li.private_seg_size, 0
	.set _ZL19rocblas_axpy_kernelIiLi256EffPKDF16_PDF16_EviT2_lT3_lT_lT4_lS5_li.uses_vcc, 1
	.set _ZL19rocblas_axpy_kernelIiLi256EffPKDF16_PDF16_EviT2_lT3_lT_lT4_lS5_li.uses_flat_scratch, 0
	.set _ZL19rocblas_axpy_kernelIiLi256EffPKDF16_PDF16_EviT2_lT3_lT_lT4_lS5_li.has_dyn_sized_stack, 0
	.set _ZL19rocblas_axpy_kernelIiLi256EffPKDF16_PDF16_EviT2_lT3_lT_lT4_lS5_li.has_recursion, 0
	.set _ZL19rocblas_axpy_kernelIiLi256EffPKDF16_PDF16_EviT2_lT3_lT_lT4_lS5_li.has_indirect_call, 0
	.section	.AMDGPU.csdata,"",@progbits
; Kernel info:
; codeLenInByte = 316
; TotalNumSgprs: 22
; NumVgprs: 7
; ScratchSize: 0
; MemoryBound: 0
; FloatMode: 240
; IeeeMode: 1
; LDSByteSize: 0 bytes/workgroup (compile time only)
; SGPRBlocks: 2
; VGPRBlocks: 1
; NumSGPRsForWavesPerEU: 22
; NumVGPRsForWavesPerEU: 7
; Occupancy: 10
; WaveLimiterHint : 0
; COMPUTE_PGM_RSRC2:SCRATCH_EN: 0
; COMPUTE_PGM_RSRC2:USER_SGPR: 6
; COMPUTE_PGM_RSRC2:TRAP_HANDLER: 0
; COMPUTE_PGM_RSRC2:TGID_X_EN: 1
; COMPUTE_PGM_RSRC2:TGID_Y_EN: 0
; COMPUTE_PGM_RSRC2:TGID_Z_EN: 1
; COMPUTE_PGM_RSRC2:TIDIG_COMP_CNT: 0
	.section	.text._ZL26rocblas_haxpy_mlt_8_kernelILi256EPKDF16_PKPK16rocblas_bfloat16PKPS2_EviT0_lT1_llT2_lli,"axG",@progbits,_ZL26rocblas_haxpy_mlt_8_kernelILi256EPKDF16_PKPK16rocblas_bfloat16PKPS2_EviT0_lT1_llT2_lli,comdat
	.globl	_ZL26rocblas_haxpy_mlt_8_kernelILi256EPKDF16_PKPK16rocblas_bfloat16PKPS2_EviT0_lT1_llT2_lli ; -- Begin function _ZL26rocblas_haxpy_mlt_8_kernelILi256EPKDF16_PKPK16rocblas_bfloat16PKPS2_EviT0_lT1_llT2_lli
	.p2align	8
	.type	_ZL26rocblas_haxpy_mlt_8_kernelILi256EPKDF16_PKPK16rocblas_bfloat16PKPS2_EviT0_lT1_llT2_lli,@function
_ZL26rocblas_haxpy_mlt_8_kernelILi256EPKDF16_PKPK16rocblas_bfloat16PKPS2_EviT0_lT1_llT2_lli: ; @_ZL26rocblas_haxpy_mlt_8_kernelILi256EPKDF16_PKPK16rocblas_bfloat16PKPS2_EviT0_lT1_llT2_lli
; %bb.0:
	s_load_dwordx8 s[8:15], s[4:5], 0x8
	v_mov_b32_e32 v1, 0
	s_waitcnt lgkmcnt(0)
	s_mul_i32 s1, s11, s7
	s_mul_hi_u32 s2, s10, s7
	s_add_i32 s3, s2, s1
	s_mul_i32 s2, s10, s7
	s_lshl_b64 s[2:3], s[2:3], 1
	s_add_u32 s2, s8, s2
	s_addc_u32 s3, s9, s3
	global_load_ushort v2, v1, s[2:3]
	s_mov_b32 s1, 0
	s_waitcnt vmcnt(0)
	v_and_b32_e32 v3, 0xffff, v2
	v_lshl_or_b32 v3, v2, 16, v3
	v_and_b32_e32 v3, 0x7fff, v3
	v_cmp_eq_u32_e32 vcc, 0, v3
	s_cbranch_vccnz .LBB128_3
; %bb.1:
	s_load_dword s2, s[4:5], 0x0
	v_lshl_or_b32 v0, s6, 8, v0
	v_lshlrev_b64 v[0:1], 3, v[0:1]
	s_waitcnt lgkmcnt(0)
	s_ashr_i32 s3, s2, 31
	v_cmp_gt_i64_e32 vcc, s[2:3], v[0:1]
	s_and_saveexec_b64 s[2:3], vcc
	s_cbranch_execz .LBB128_3
; %bb.2:
	s_mov_b32 s0, s7
	s_lshl_b64 s[6:7], s[0:1], 3
	s_add_u32 s8, s12, s6
	s_addc_u32 s9, s13, s7
	s_load_dwordx2 s[10:11], s[8:9], 0x0
	s_load_dwordx4 s[0:3], s[4:5], 0x30
	s_lshl_b64 s[4:5], s[14:15], 1
	v_lshlrev_b64 v[0:1], 1, v[0:1]
	s_waitcnt lgkmcnt(0)
	s_add_u32 s4, s10, s4
	s_addc_u32 s5, s11, s5
	s_add_u32 s0, s0, s6
	s_addc_u32 s1, s1, s7
	s_load_dwordx2 s[0:1], s[0:1], 0x0
	s_lshl_b64 s[2:3], s[2:3], 1
	v_mov_b32_e32 v3, s5
	v_add_co_u32_e32 v11, vcc, s4, v0
	s_waitcnt lgkmcnt(0)
	s_add_u32 s0, s0, s2
	v_addc_co_u32_e32 v12, vcc, v3, v1, vcc
	s_addc_u32 s1, s1, s3
	v_mov_b32_e32 v3, s1
	v_add_co_u32_e32 v0, vcc, s0, v0
	v_addc_co_u32_e32 v1, vcc, v3, v1, vcc
	flat_load_dwordx4 v[3:6], v[11:12]
	flat_load_dwordx4 v[7:10], v[0:1]
	s_waitcnt vmcnt(0) lgkmcnt(0)
	v_pk_fma_f16 v6, v2, v6, v10 op_sel_hi:[0,1,1]
	v_pk_fma_f16 v5, v2, v5, v9 op_sel_hi:[0,1,1]
	;; [unrolled: 1-line block ×4, first 2 shown]
	flat_store_dwordx4 v[0:1], v[3:6]
.LBB128_3:
	s_endpgm
	.section	.rodata,"a",@progbits
	.p2align	6, 0x0
	.amdhsa_kernel _ZL26rocblas_haxpy_mlt_8_kernelILi256EPKDF16_PKPK16rocblas_bfloat16PKPS2_EviT0_lT1_llT2_lli
		.amdhsa_group_segment_fixed_size 0
		.amdhsa_private_segment_fixed_size 0
		.amdhsa_kernarg_size 76
		.amdhsa_user_sgpr_count 6
		.amdhsa_user_sgpr_private_segment_buffer 1
		.amdhsa_user_sgpr_dispatch_ptr 0
		.amdhsa_user_sgpr_queue_ptr 0
		.amdhsa_user_sgpr_kernarg_segment_ptr 1
		.amdhsa_user_sgpr_dispatch_id 0
		.amdhsa_user_sgpr_flat_scratch_init 0
		.amdhsa_user_sgpr_private_segment_size 0
		.amdhsa_uses_dynamic_stack 0
		.amdhsa_system_sgpr_private_segment_wavefront_offset 0
		.amdhsa_system_sgpr_workgroup_id_x 1
		.amdhsa_system_sgpr_workgroup_id_y 0
		.amdhsa_system_sgpr_workgroup_id_z 1
		.amdhsa_system_sgpr_workgroup_info 0
		.amdhsa_system_vgpr_workitem_id 0
		.amdhsa_next_free_vgpr 13
		.amdhsa_next_free_sgpr 16
		.amdhsa_reserve_vcc 1
		.amdhsa_reserve_flat_scratch 0
		.amdhsa_float_round_mode_32 0
		.amdhsa_float_round_mode_16_64 0
		.amdhsa_float_denorm_mode_32 3
		.amdhsa_float_denorm_mode_16_64 3
		.amdhsa_dx10_clamp 1
		.amdhsa_ieee_mode 1
		.amdhsa_fp16_overflow 0
		.amdhsa_exception_fp_ieee_invalid_op 0
		.amdhsa_exception_fp_denorm_src 0
		.amdhsa_exception_fp_ieee_div_zero 0
		.amdhsa_exception_fp_ieee_overflow 0
		.amdhsa_exception_fp_ieee_underflow 0
		.amdhsa_exception_fp_ieee_inexact 0
		.amdhsa_exception_int_div_zero 0
	.end_amdhsa_kernel
	.section	.text._ZL26rocblas_haxpy_mlt_8_kernelILi256EPKDF16_PKPK16rocblas_bfloat16PKPS2_EviT0_lT1_llT2_lli,"axG",@progbits,_ZL26rocblas_haxpy_mlt_8_kernelILi256EPKDF16_PKPK16rocblas_bfloat16PKPS2_EviT0_lT1_llT2_lli,comdat
.Lfunc_end128:
	.size	_ZL26rocblas_haxpy_mlt_8_kernelILi256EPKDF16_PKPK16rocblas_bfloat16PKPS2_EviT0_lT1_llT2_lli, .Lfunc_end128-_ZL26rocblas_haxpy_mlt_8_kernelILi256EPKDF16_PKPK16rocblas_bfloat16PKPS2_EviT0_lT1_llT2_lli
                                        ; -- End function
	.set _ZL26rocblas_haxpy_mlt_8_kernelILi256EPKDF16_PKPK16rocblas_bfloat16PKPS2_EviT0_lT1_llT2_lli.num_vgpr, 13
	.set _ZL26rocblas_haxpy_mlt_8_kernelILi256EPKDF16_PKPK16rocblas_bfloat16PKPS2_EviT0_lT1_llT2_lli.num_agpr, 0
	.set _ZL26rocblas_haxpy_mlt_8_kernelILi256EPKDF16_PKPK16rocblas_bfloat16PKPS2_EviT0_lT1_llT2_lli.numbered_sgpr, 16
	.set _ZL26rocblas_haxpy_mlt_8_kernelILi256EPKDF16_PKPK16rocblas_bfloat16PKPS2_EviT0_lT1_llT2_lli.num_named_barrier, 0
	.set _ZL26rocblas_haxpy_mlt_8_kernelILi256EPKDF16_PKPK16rocblas_bfloat16PKPS2_EviT0_lT1_llT2_lli.private_seg_size, 0
	.set _ZL26rocblas_haxpy_mlt_8_kernelILi256EPKDF16_PKPK16rocblas_bfloat16PKPS2_EviT0_lT1_llT2_lli.uses_vcc, 1
	.set _ZL26rocblas_haxpy_mlt_8_kernelILi256EPKDF16_PKPK16rocblas_bfloat16PKPS2_EviT0_lT1_llT2_lli.uses_flat_scratch, 0
	.set _ZL26rocblas_haxpy_mlt_8_kernelILi256EPKDF16_PKPK16rocblas_bfloat16PKPS2_EviT0_lT1_llT2_lli.has_dyn_sized_stack, 0
	.set _ZL26rocblas_haxpy_mlt_8_kernelILi256EPKDF16_PKPK16rocblas_bfloat16PKPS2_EviT0_lT1_llT2_lli.has_recursion, 0
	.set _ZL26rocblas_haxpy_mlt_8_kernelILi256EPKDF16_PKPK16rocblas_bfloat16PKPS2_EviT0_lT1_llT2_lli.has_indirect_call, 0
	.section	.AMDGPU.csdata,"",@progbits
; Kernel info:
; codeLenInByte = 312
; TotalNumSgprs: 20
; NumVgprs: 13
; ScratchSize: 0
; MemoryBound: 0
; FloatMode: 240
; IeeeMode: 1
; LDSByteSize: 0 bytes/workgroup (compile time only)
; SGPRBlocks: 2
; VGPRBlocks: 3
; NumSGPRsForWavesPerEU: 20
; NumVGPRsForWavesPerEU: 13
; Occupancy: 10
; WaveLimiterHint : 1
; COMPUTE_PGM_RSRC2:SCRATCH_EN: 0
; COMPUTE_PGM_RSRC2:USER_SGPR: 6
; COMPUTE_PGM_RSRC2:TRAP_HANDLER: 0
; COMPUTE_PGM_RSRC2:TGID_X_EN: 1
; COMPUTE_PGM_RSRC2:TGID_Y_EN: 0
; COMPUTE_PGM_RSRC2:TGID_Z_EN: 1
; COMPUTE_PGM_RSRC2:TIDIG_COMP_CNT: 0
	.section	.text._ZL26rocblas_haxpy_mod_8_kernelILi256EPK16rocblas_bfloat16PKS2_PKPS0_EviT0_lT1_llT2_lli,"axG",@progbits,_ZL26rocblas_haxpy_mod_8_kernelILi256EPK16rocblas_bfloat16PKS2_PKPS0_EviT0_lT1_llT2_lli,comdat
	.globl	_ZL26rocblas_haxpy_mod_8_kernelILi256EPK16rocblas_bfloat16PKS2_PKPS0_EviT0_lT1_llT2_lli ; -- Begin function _ZL26rocblas_haxpy_mod_8_kernelILi256EPK16rocblas_bfloat16PKS2_PKPS0_EviT0_lT1_llT2_lli
	.p2align	8
	.type	_ZL26rocblas_haxpy_mod_8_kernelILi256EPK16rocblas_bfloat16PKS2_PKPS0_EviT0_lT1_llT2_lli,@function
_ZL26rocblas_haxpy_mod_8_kernelILi256EPK16rocblas_bfloat16PKS2_PKPS0_EviT0_lT1_llT2_lli: ; @_ZL26rocblas_haxpy_mod_8_kernelILi256EPK16rocblas_bfloat16PKS2_PKPS0_EviT0_lT1_llT2_lli
; %bb.0:
	s_load_dword s2, s[4:5], 0x0
	s_load_dwordx8 s[8:15], s[4:5], 0x8
	s_mov_b32 s0, s7
	v_mov_b32_e32 v1, 0
	v_lshl_or_b32 v0, s6, 8, v0
	s_waitcnt lgkmcnt(0)
	s_ashr_i32 s3, s2, 31
	s_mul_i32 s1, s11, s7
	s_mul_hi_u32 s7, s10, s7
	s_add_i32 s11, s7, s1
	s_mul_i32 s10, s10, s0
	s_lshl_b64 s[10:11], s[10:11], 1
	s_add_u32 s8, s8, s10
	s_addc_u32 s9, s9, s11
	global_load_ushort v2, v1, s[8:9]
	v_cmp_gt_i64_e32 vcc, s[2:3], v[0:1]
	s_mov_b32 s1, 0
	s_waitcnt vmcnt(0)
	v_readfirstlane_b32 s6, v2
	s_and_b32 s6, s6, 0x7fff
	s_cmp_lg_u32 s6, 0
	s_cselect_b64 s[2:3], -1, 0
	s_and_b64 s[2:3], vcc, s[2:3]
	s_and_saveexec_b64 s[6:7], s[2:3]
	s_cbranch_execz .LBB129_10
; %bb.1:
	s_lshl_b64 s[6:7], s[0:1], 3
	s_add_u32 s0, s12, s6
	s_addc_u32 s1, s13, s7
	s_load_dwordx2 s[0:1], s[0:1], 0x0
	s_lshl_b64 s[2:3], s[14:15], 1
	v_lshlrev_b64 v[0:1], 1, v[0:1]
	v_lshlrev_b32_e32 v2, 16, v2
	s_waitcnt lgkmcnt(0)
	s_add_u32 s0, s0, s2
	s_addc_u32 s1, s1, s3
	v_mov_b32_e32 v4, s1
	v_add_co_u32_e32 v3, vcc, s0, v0
	v_addc_co_u32_e32 v4, vcc, v4, v1, vcc
	flat_load_ushort v3, v[3:4]
	s_load_dwordx4 s[0:3], s[4:5], 0x30
	s_mov_b32 s4, 0x7f800000
	s_waitcnt lgkmcnt(0)
	s_add_u32 s0, s0, s6
	s_addc_u32 s1, s1, s7
	s_load_dwordx2 s[0:1], s[0:1], 0x0
	s_waitcnt vmcnt(0)
	v_lshlrev_b32_e32 v3, 16, v3
	v_mul_f32_e32 v3, v2, v3
	v_and_b32_e32 v2, 0x7f800000, v3
	v_cmp_ne_u32_e32 vcc, s4, v2
                                        ; implicit-def: $vgpr2
	s_and_saveexec_b64 s[4:5], vcc
	s_xor_b64 s[4:5], exec, s[4:5]
; %bb.2:
	v_bfe_u32 v2, v3, 16, 1
	s_movk_i32 s6, 0x7fff
	v_add3_u32 v2, v3, v2, s6
                                        ; implicit-def: $vgpr3
; %bb.3:
	s_andn2_saveexec_b64 s[4:5], s[4:5]
; %bb.4:
	v_mov_b32_e32 v2, 0
	v_or_b32_e32 v4, 0x10000, v3
	v_cmp_eq_u32_sdwa vcc, v3, v2 src0_sel:WORD_0 src1_sel:DWORD
	v_cndmask_b32_e32 v2, v4, v3, vcc
; %bb.5:
	s_or_b64 exec, exec, s[4:5]
	s_lshl_b64 s[2:3], s[2:3], 1
	s_waitcnt lgkmcnt(0)
	s_add_u32 s0, s0, s2
	s_addc_u32 s1, s1, s3
	v_mov_b32_e32 v3, s1
	v_add_co_u32_e32 v0, vcc, s0, v0
	v_addc_co_u32_e32 v1, vcc, v3, v1, vcc
	flat_load_ushort v3, v[0:1]
	v_and_b32_e32 v2, 0xffff0000, v2
	s_mov_b32 s0, 0x7f800000
	s_waitcnt vmcnt(0) lgkmcnt(0)
	v_lshlrev_b32_e32 v3, 16, v3
	v_add_f32_e32 v2, v2, v3
	v_and_b32_e32 v3, 0x7f800000, v2
	v_cmp_ne_u32_e32 vcc, s0, v3
                                        ; implicit-def: $vgpr3
	s_and_saveexec_b64 s[0:1], vcc
	s_xor_b64 s[0:1], exec, s[0:1]
; %bb.6:
	v_bfe_u32 v3, v2, 16, 1
	s_movk_i32 s2, 0x7fff
	v_add3_u32 v3, v2, v3, s2
                                        ; implicit-def: $vgpr2
; %bb.7:
	s_andn2_saveexec_b64 s[0:1], s[0:1]
; %bb.8:
	v_mov_b32_e32 v3, 0
	v_or_b32_e32 v4, 0x10000, v2
	v_cmp_eq_u32_sdwa vcc, v2, v3 src0_sel:WORD_0 src1_sel:DWORD
	v_cndmask_b32_e32 v3, v4, v2, vcc
; %bb.9:
	s_or_b64 exec, exec, s[0:1]
	flat_store_short_d16_hi v[0:1], v3
.LBB129_10:
	s_endpgm
	.section	.rodata,"a",@progbits
	.p2align	6, 0x0
	.amdhsa_kernel _ZL26rocblas_haxpy_mod_8_kernelILi256EPK16rocblas_bfloat16PKS2_PKPS0_EviT0_lT1_llT2_lli
		.amdhsa_group_segment_fixed_size 0
		.amdhsa_private_segment_fixed_size 0
		.amdhsa_kernarg_size 76
		.amdhsa_user_sgpr_count 6
		.amdhsa_user_sgpr_private_segment_buffer 1
		.amdhsa_user_sgpr_dispatch_ptr 0
		.amdhsa_user_sgpr_queue_ptr 0
		.amdhsa_user_sgpr_kernarg_segment_ptr 1
		.amdhsa_user_sgpr_dispatch_id 0
		.amdhsa_user_sgpr_flat_scratch_init 0
		.amdhsa_user_sgpr_private_segment_size 0
		.amdhsa_uses_dynamic_stack 0
		.amdhsa_system_sgpr_private_segment_wavefront_offset 0
		.amdhsa_system_sgpr_workgroup_id_x 1
		.amdhsa_system_sgpr_workgroup_id_y 0
		.amdhsa_system_sgpr_workgroup_id_z 1
		.amdhsa_system_sgpr_workgroup_info 0
		.amdhsa_system_vgpr_workitem_id 0
		.amdhsa_next_free_vgpr 5
		.amdhsa_next_free_sgpr 16
		.amdhsa_reserve_vcc 1
		.amdhsa_reserve_flat_scratch 0
		.amdhsa_float_round_mode_32 0
		.amdhsa_float_round_mode_16_64 0
		.amdhsa_float_denorm_mode_32 3
		.amdhsa_float_denorm_mode_16_64 3
		.amdhsa_dx10_clamp 1
		.amdhsa_ieee_mode 1
		.amdhsa_fp16_overflow 0
		.amdhsa_exception_fp_ieee_invalid_op 0
		.amdhsa_exception_fp_denorm_src 0
		.amdhsa_exception_fp_ieee_div_zero 0
		.amdhsa_exception_fp_ieee_overflow 0
		.amdhsa_exception_fp_ieee_underflow 0
		.amdhsa_exception_fp_ieee_inexact 0
		.amdhsa_exception_int_div_zero 0
	.end_amdhsa_kernel
	.section	.text._ZL26rocblas_haxpy_mod_8_kernelILi256EPK16rocblas_bfloat16PKS2_PKPS0_EviT0_lT1_llT2_lli,"axG",@progbits,_ZL26rocblas_haxpy_mod_8_kernelILi256EPK16rocblas_bfloat16PKS2_PKPS0_EviT0_lT1_llT2_lli,comdat
.Lfunc_end129:
	.size	_ZL26rocblas_haxpy_mod_8_kernelILi256EPK16rocblas_bfloat16PKS2_PKPS0_EviT0_lT1_llT2_lli, .Lfunc_end129-_ZL26rocblas_haxpy_mod_8_kernelILi256EPK16rocblas_bfloat16PKS2_PKPS0_EviT0_lT1_llT2_lli
                                        ; -- End function
	.set _ZL26rocblas_haxpy_mod_8_kernelILi256EPK16rocblas_bfloat16PKS2_PKPS0_EviT0_lT1_llT2_lli.num_vgpr, 5
	.set _ZL26rocblas_haxpy_mod_8_kernelILi256EPK16rocblas_bfloat16PKS2_PKPS0_EviT0_lT1_llT2_lli.num_agpr, 0
	.set _ZL26rocblas_haxpy_mod_8_kernelILi256EPK16rocblas_bfloat16PKS2_PKPS0_EviT0_lT1_llT2_lli.numbered_sgpr, 16
	.set _ZL26rocblas_haxpy_mod_8_kernelILi256EPK16rocblas_bfloat16PKS2_PKPS0_EviT0_lT1_llT2_lli.num_named_barrier, 0
	.set _ZL26rocblas_haxpy_mod_8_kernelILi256EPK16rocblas_bfloat16PKS2_PKPS0_EviT0_lT1_llT2_lli.private_seg_size, 0
	.set _ZL26rocblas_haxpy_mod_8_kernelILi256EPK16rocblas_bfloat16PKS2_PKPS0_EviT0_lT1_llT2_lli.uses_vcc, 1
	.set _ZL26rocblas_haxpy_mod_8_kernelILi256EPK16rocblas_bfloat16PKS2_PKPS0_EviT0_lT1_llT2_lli.uses_flat_scratch, 0
	.set _ZL26rocblas_haxpy_mod_8_kernelILi256EPK16rocblas_bfloat16PKS2_PKPS0_EviT0_lT1_llT2_lli.has_dyn_sized_stack, 0
	.set _ZL26rocblas_haxpy_mod_8_kernelILi256EPK16rocblas_bfloat16PKS2_PKPS0_EviT0_lT1_llT2_lli.has_recursion, 0
	.set _ZL26rocblas_haxpy_mod_8_kernelILi256EPK16rocblas_bfloat16PKS2_PKPS0_EviT0_lT1_llT2_lli.has_indirect_call, 0
	.section	.AMDGPU.csdata,"",@progbits
; Kernel info:
; codeLenInByte = 456
; TotalNumSgprs: 20
; NumVgprs: 5
; ScratchSize: 0
; MemoryBound: 0
; FloatMode: 240
; IeeeMode: 1
; LDSByteSize: 0 bytes/workgroup (compile time only)
; SGPRBlocks: 2
; VGPRBlocks: 1
; NumSGPRsForWavesPerEU: 20
; NumVGPRsForWavesPerEU: 5
; Occupancy: 10
; WaveLimiterHint : 1
; COMPUTE_PGM_RSRC2:SCRATCH_EN: 0
; COMPUTE_PGM_RSRC2:USER_SGPR: 6
; COMPUTE_PGM_RSRC2:TRAP_HANDLER: 0
; COMPUTE_PGM_RSRC2:TGID_X_EN: 1
; COMPUTE_PGM_RSRC2:TGID_Y_EN: 0
; COMPUTE_PGM_RSRC2:TGID_Z_EN: 1
; COMPUTE_PGM_RSRC2:TIDIG_COMP_CNT: 0
	.section	.text._ZL26rocblas_haxpy_mlt_8_kernelILi256EDF16_PKPK16rocblas_bfloat16PKPS0_EviT0_lT1_llT2_lli,"axG",@progbits,_ZL26rocblas_haxpy_mlt_8_kernelILi256EDF16_PKPK16rocblas_bfloat16PKPS0_EviT0_lT1_llT2_lli,comdat
	.globl	_ZL26rocblas_haxpy_mlt_8_kernelILi256EDF16_PKPK16rocblas_bfloat16PKPS0_EviT0_lT1_llT2_lli ; -- Begin function _ZL26rocblas_haxpy_mlt_8_kernelILi256EDF16_PKPK16rocblas_bfloat16PKPS0_EviT0_lT1_llT2_lli
	.p2align	8
	.type	_ZL26rocblas_haxpy_mlt_8_kernelILi256EDF16_PKPK16rocblas_bfloat16PKPS0_EviT0_lT1_llT2_lli,@function
_ZL26rocblas_haxpy_mlt_8_kernelILi256EDF16_PKPK16rocblas_bfloat16PKPS0_EviT0_lT1_llT2_lli: ; @_ZL26rocblas_haxpy_mlt_8_kernelILi256EDF16_PKPK16rocblas_bfloat16PKPS0_EviT0_lT1_llT2_lli
; %bb.0:
	s_load_dwordx2 s[0:1], s[4:5], 0x0
	s_waitcnt lgkmcnt(0)
	s_pack_ll_b32_b16 s3, s1, s1
	s_and_b32 s3, s3, 0x7fff
	s_cmp_eq_u32 s3, 0
	s_cbranch_scc1 .LBB130_3
; %bb.1:
	v_lshl_or_b32 v0, s6, 8, v0
	v_mov_b32_e32 v1, 0
	v_lshlrev_b64 v[0:1], 3, v[0:1]
	s_mov_b32 s2, s7
	s_ashr_i32 s7, s0, 31
	s_mov_b32 s6, s0
	v_cmp_gt_i64_e32 vcc, s[6:7], v[0:1]
	s_and_saveexec_b64 s[6:7], vcc
	s_cbranch_execz .LBB130_3
; %bb.2:
	s_load_dwordx4 s[8:11], s[4:5], 0x10
	s_load_dwordx4 s[12:15], s[4:5], 0x28
	s_mov_b32 s3, 0
	s_lshl_b64 s[2:3], s[2:3], 3
	v_lshlrev_b64 v[0:1], 1, v[0:1]
	s_waitcnt lgkmcnt(0)
	s_add_u32 s4, s8, s2
	s_addc_u32 s5, s9, s3
	s_load_dwordx2 s[4:5], s[4:5], 0x0
	s_lshl_b64 s[6:7], s[10:11], 1
	s_waitcnt lgkmcnt(0)
	s_add_u32 s0, s4, s6
	s_addc_u32 s4, s5, s7
	s_add_u32 s2, s12, s2
	s_addc_u32 s3, s13, s3
	s_load_dwordx2 s[2:3], s[2:3], 0x0
	v_mov_b32_e32 v2, s4
	s_lshl_b64 s[4:5], s[14:15], 1
	v_add_co_u32_e32 v8, vcc, s0, v0
	s_waitcnt lgkmcnt(0)
	s_add_u32 s0, s2, s4
	v_addc_co_u32_e32 v9, vcc, v2, v1, vcc
	s_addc_u32 s2, s3, s5
	v_mov_b32_e32 v2, s2
	v_add_co_u32_e32 v10, vcc, s0, v0
	v_addc_co_u32_e32 v11, vcc, v2, v1, vcc
	flat_load_dwordx4 v[0:3], v[8:9]
	flat_load_dwordx4 v[4:7], v[10:11]
	s_waitcnt vmcnt(0) lgkmcnt(0)
	v_pk_fma_f16 v3, s1, v3, v7 op_sel_hi:[0,1,1]
	v_pk_fma_f16 v2, s1, v2, v6 op_sel_hi:[0,1,1]
	;; [unrolled: 1-line block ×4, first 2 shown]
	flat_store_dwordx4 v[10:11], v[0:3]
.LBB130_3:
	s_endpgm
	.section	.rodata,"a",@progbits
	.p2align	6, 0x0
	.amdhsa_kernel _ZL26rocblas_haxpy_mlt_8_kernelILi256EDF16_PKPK16rocblas_bfloat16PKPS0_EviT0_lT1_llT2_lli
		.amdhsa_group_segment_fixed_size 0
		.amdhsa_private_segment_fixed_size 0
		.amdhsa_kernarg_size 68
		.amdhsa_user_sgpr_count 6
		.amdhsa_user_sgpr_private_segment_buffer 1
		.amdhsa_user_sgpr_dispatch_ptr 0
		.amdhsa_user_sgpr_queue_ptr 0
		.amdhsa_user_sgpr_kernarg_segment_ptr 1
		.amdhsa_user_sgpr_dispatch_id 0
		.amdhsa_user_sgpr_flat_scratch_init 0
		.amdhsa_user_sgpr_private_segment_size 0
		.amdhsa_uses_dynamic_stack 0
		.amdhsa_system_sgpr_private_segment_wavefront_offset 0
		.amdhsa_system_sgpr_workgroup_id_x 1
		.amdhsa_system_sgpr_workgroup_id_y 0
		.amdhsa_system_sgpr_workgroup_id_z 1
		.amdhsa_system_sgpr_workgroup_info 0
		.amdhsa_system_vgpr_workitem_id 0
		.amdhsa_next_free_vgpr 12
		.amdhsa_next_free_sgpr 16
		.amdhsa_reserve_vcc 1
		.amdhsa_reserve_flat_scratch 0
		.amdhsa_float_round_mode_32 0
		.amdhsa_float_round_mode_16_64 0
		.amdhsa_float_denorm_mode_32 3
		.amdhsa_float_denorm_mode_16_64 3
		.amdhsa_dx10_clamp 1
		.amdhsa_ieee_mode 1
		.amdhsa_fp16_overflow 0
		.amdhsa_exception_fp_ieee_invalid_op 0
		.amdhsa_exception_fp_denorm_src 0
		.amdhsa_exception_fp_ieee_div_zero 0
		.amdhsa_exception_fp_ieee_overflow 0
		.amdhsa_exception_fp_ieee_underflow 0
		.amdhsa_exception_fp_ieee_inexact 0
		.amdhsa_exception_int_div_zero 0
	.end_amdhsa_kernel
	.section	.text._ZL26rocblas_haxpy_mlt_8_kernelILi256EDF16_PKPK16rocblas_bfloat16PKPS0_EviT0_lT1_llT2_lli,"axG",@progbits,_ZL26rocblas_haxpy_mlt_8_kernelILi256EDF16_PKPK16rocblas_bfloat16PKPS0_EviT0_lT1_llT2_lli,comdat
.Lfunc_end130:
	.size	_ZL26rocblas_haxpy_mlt_8_kernelILi256EDF16_PKPK16rocblas_bfloat16PKPS0_EviT0_lT1_llT2_lli, .Lfunc_end130-_ZL26rocblas_haxpy_mlt_8_kernelILi256EDF16_PKPK16rocblas_bfloat16PKPS0_EviT0_lT1_llT2_lli
                                        ; -- End function
	.set _ZL26rocblas_haxpy_mlt_8_kernelILi256EDF16_PKPK16rocblas_bfloat16PKPS0_EviT0_lT1_llT2_lli.num_vgpr, 12
	.set _ZL26rocblas_haxpy_mlt_8_kernelILi256EDF16_PKPK16rocblas_bfloat16PKPS0_EviT0_lT1_llT2_lli.num_agpr, 0
	.set _ZL26rocblas_haxpy_mlt_8_kernelILi256EDF16_PKPK16rocblas_bfloat16PKPS0_EviT0_lT1_llT2_lli.numbered_sgpr, 16
	.set _ZL26rocblas_haxpy_mlt_8_kernelILi256EDF16_PKPK16rocblas_bfloat16PKPS0_EviT0_lT1_llT2_lli.num_named_barrier, 0
	.set _ZL26rocblas_haxpy_mlt_8_kernelILi256EDF16_PKPK16rocblas_bfloat16PKPS0_EviT0_lT1_llT2_lli.private_seg_size, 0
	.set _ZL26rocblas_haxpy_mlt_8_kernelILi256EDF16_PKPK16rocblas_bfloat16PKPS0_EviT0_lT1_llT2_lli.uses_vcc, 1
	.set _ZL26rocblas_haxpy_mlt_8_kernelILi256EDF16_PKPK16rocblas_bfloat16PKPS0_EviT0_lT1_llT2_lli.uses_flat_scratch, 0
	.set _ZL26rocblas_haxpy_mlt_8_kernelILi256EDF16_PKPK16rocblas_bfloat16PKPS0_EviT0_lT1_llT2_lli.has_dyn_sized_stack, 0
	.set _ZL26rocblas_haxpy_mlt_8_kernelILi256EDF16_PKPK16rocblas_bfloat16PKPS0_EviT0_lT1_llT2_lli.has_recursion, 0
	.set _ZL26rocblas_haxpy_mlt_8_kernelILi256EDF16_PKPK16rocblas_bfloat16PKPS0_EviT0_lT1_llT2_lli.has_indirect_call, 0
	.section	.AMDGPU.csdata,"",@progbits
; Kernel info:
; codeLenInByte = 264
; TotalNumSgprs: 20
; NumVgprs: 12
; ScratchSize: 0
; MemoryBound: 0
; FloatMode: 240
; IeeeMode: 1
; LDSByteSize: 0 bytes/workgroup (compile time only)
; SGPRBlocks: 2
; VGPRBlocks: 2
; NumSGPRsForWavesPerEU: 20
; NumVGPRsForWavesPerEU: 12
; Occupancy: 10
; WaveLimiterHint : 1
; COMPUTE_PGM_RSRC2:SCRATCH_EN: 0
; COMPUTE_PGM_RSRC2:USER_SGPR: 6
; COMPUTE_PGM_RSRC2:TRAP_HANDLER: 0
; COMPUTE_PGM_RSRC2:TGID_X_EN: 1
; COMPUTE_PGM_RSRC2:TGID_Y_EN: 0
; COMPUTE_PGM_RSRC2:TGID_Z_EN: 1
; COMPUTE_PGM_RSRC2:TIDIG_COMP_CNT: 0
	.section	.text._ZL26rocblas_haxpy_mod_8_kernelILi256E16rocblas_bfloat16PKPKS0_PKPS0_EviT0_lT1_llT2_lli,"axG",@progbits,_ZL26rocblas_haxpy_mod_8_kernelILi256E16rocblas_bfloat16PKPKS0_PKPS0_EviT0_lT1_llT2_lli,comdat
	.globl	_ZL26rocblas_haxpy_mod_8_kernelILi256E16rocblas_bfloat16PKPKS0_PKPS0_EviT0_lT1_llT2_lli ; -- Begin function _ZL26rocblas_haxpy_mod_8_kernelILi256E16rocblas_bfloat16PKPKS0_PKPS0_EviT0_lT1_llT2_lli
	.p2align	8
	.type	_ZL26rocblas_haxpy_mod_8_kernelILi256E16rocblas_bfloat16PKPKS0_PKPS0_EviT0_lT1_llT2_lli,@function
_ZL26rocblas_haxpy_mod_8_kernelILi256E16rocblas_bfloat16PKPKS0_PKPS0_EviT0_lT1_llT2_lli: ; @_ZL26rocblas_haxpy_mod_8_kernelILi256E16rocblas_bfloat16PKPKS0_PKPS0_EviT0_lT1_llT2_lli
; %bb.0:
	s_load_dwordx2 s[8:9], s[4:5], 0x0
	v_lshl_or_b32 v0, s6, 8, v0
	v_mov_b32_e32 v1, 0
	s_mov_b32 s11, 0
	s_waitcnt lgkmcnt(0)
	s_and_b32 s0, s9, 0x7fff
	s_cmp_lg_u32 s0, 0
	s_cselect_b64 s[0:1], -1, 0
	s_ashr_i32 s3, s8, 31
	s_mov_b32 s2, s8
	v_cmp_gt_i64_e32 vcc, s[2:3], v[0:1]
	s_and_b64 s[0:1], vcc, s[0:1]
	s_and_saveexec_b64 s[2:3], s[0:1]
	s_cbranch_execz .LBB131_10
; %bb.1:
	s_load_dwordx4 s[12:15], s[4:5], 0x10
	s_load_dwordx4 s[0:3], s[4:5], 0x28
	s_mov_b32 s10, s7
	s_lshl_b64 s[4:5], s[10:11], 3
	v_lshlrev_b64 v[0:1], 1, v[0:1]
	s_waitcnt lgkmcnt(0)
	s_add_u32 s6, s12, s4
	s_addc_u32 s7, s13, s5
	s_load_dwordx2 s[6:7], s[6:7], 0x0
	s_lshl_b64 s[10:11], s[14:15], 1
	s_waitcnt lgkmcnt(0)
	s_add_u32 s6, s6, s10
	s_addc_u32 s7, s7, s11
	v_mov_b32_e32 v3, s7
	v_add_co_u32_e32 v2, vcc, s6, v0
	v_addc_co_u32_e32 v3, vcc, v3, v1, vcc
	flat_load_ushort v2, v[2:3]
	s_add_u32 s0, s0, s4
	s_addc_u32 s1, s1, s5
	s_load_dwordx2 s[0:1], s[0:1], 0x0
	s_lshl_b32 s4, s9, 16
	s_waitcnt vmcnt(0) lgkmcnt(0)
	v_lshlrev_b32_e32 v2, 16, v2
	v_mul_f32_e32 v3, s4, v2
	s_mov_b32 s4, 0x7f800000
	v_and_b32_e32 v2, 0x7f800000, v3
	v_cmp_ne_u32_e32 vcc, s4, v2
                                        ; implicit-def: $vgpr2
	s_and_saveexec_b64 s[4:5], vcc
	s_xor_b64 s[4:5], exec, s[4:5]
; %bb.2:
	v_bfe_u32 v2, v3, 16, 1
	s_movk_i32 s6, 0x7fff
	v_add3_u32 v2, v3, v2, s6
                                        ; implicit-def: $vgpr3
; %bb.3:
	s_andn2_saveexec_b64 s[4:5], s[4:5]
; %bb.4:
	v_mov_b32_e32 v2, 0
	v_or_b32_e32 v4, 0x10000, v3
	v_cmp_eq_u32_sdwa vcc, v3, v2 src0_sel:WORD_0 src1_sel:DWORD
	v_cndmask_b32_e32 v2, v4, v3, vcc
; %bb.5:
	s_or_b64 exec, exec, s[4:5]
	s_lshl_b64 s[2:3], s[2:3], 1
	s_add_u32 s0, s0, s2
	s_addc_u32 s1, s1, s3
	v_mov_b32_e32 v3, s1
	v_add_co_u32_e32 v0, vcc, s0, v0
	v_addc_co_u32_e32 v1, vcc, v3, v1, vcc
	flat_load_ushort v3, v[0:1]
	v_and_b32_e32 v2, 0xffff0000, v2
	s_mov_b32 s0, 0x7f800000
	s_waitcnt vmcnt(0) lgkmcnt(0)
	v_lshlrev_b32_e32 v3, 16, v3
	v_add_f32_e32 v2, v2, v3
	v_and_b32_e32 v3, 0x7f800000, v2
	v_cmp_ne_u32_e32 vcc, s0, v3
                                        ; implicit-def: $vgpr3
	s_and_saveexec_b64 s[0:1], vcc
	s_xor_b64 s[0:1], exec, s[0:1]
; %bb.6:
	v_bfe_u32 v3, v2, 16, 1
	s_movk_i32 s2, 0x7fff
	v_add3_u32 v3, v2, v3, s2
                                        ; implicit-def: $vgpr2
; %bb.7:
	s_andn2_saveexec_b64 s[0:1], s[0:1]
; %bb.8:
	v_mov_b32_e32 v3, 0
	v_or_b32_e32 v4, 0x10000, v2
	v_cmp_eq_u32_sdwa vcc, v2, v3 src0_sel:WORD_0 src1_sel:DWORD
	v_cndmask_b32_e32 v3, v4, v2, vcc
; %bb.9:
	s_or_b64 exec, exec, s[0:1]
	flat_store_short_d16_hi v[0:1], v3
.LBB131_10:
	s_endpgm
	.section	.rodata,"a",@progbits
	.p2align	6, 0x0
	.amdhsa_kernel _ZL26rocblas_haxpy_mod_8_kernelILi256E16rocblas_bfloat16PKPKS0_PKPS0_EviT0_lT1_llT2_lli
		.amdhsa_group_segment_fixed_size 0
		.amdhsa_private_segment_fixed_size 0
		.amdhsa_kernarg_size 68
		.amdhsa_user_sgpr_count 6
		.amdhsa_user_sgpr_private_segment_buffer 1
		.amdhsa_user_sgpr_dispatch_ptr 0
		.amdhsa_user_sgpr_queue_ptr 0
		.amdhsa_user_sgpr_kernarg_segment_ptr 1
		.amdhsa_user_sgpr_dispatch_id 0
		.amdhsa_user_sgpr_flat_scratch_init 0
		.amdhsa_user_sgpr_private_segment_size 0
		.amdhsa_uses_dynamic_stack 0
		.amdhsa_system_sgpr_private_segment_wavefront_offset 0
		.amdhsa_system_sgpr_workgroup_id_x 1
		.amdhsa_system_sgpr_workgroup_id_y 0
		.amdhsa_system_sgpr_workgroup_id_z 1
		.amdhsa_system_sgpr_workgroup_info 0
		.amdhsa_system_vgpr_workitem_id 0
		.amdhsa_next_free_vgpr 5
		.amdhsa_next_free_sgpr 16
		.amdhsa_reserve_vcc 1
		.amdhsa_reserve_flat_scratch 0
		.amdhsa_float_round_mode_32 0
		.amdhsa_float_round_mode_16_64 0
		.amdhsa_float_denorm_mode_32 3
		.amdhsa_float_denorm_mode_16_64 3
		.amdhsa_dx10_clamp 1
		.amdhsa_ieee_mode 1
		.amdhsa_fp16_overflow 0
		.amdhsa_exception_fp_ieee_invalid_op 0
		.amdhsa_exception_fp_denorm_src 0
		.amdhsa_exception_fp_ieee_div_zero 0
		.amdhsa_exception_fp_ieee_overflow 0
		.amdhsa_exception_fp_ieee_underflow 0
		.amdhsa_exception_fp_ieee_inexact 0
		.amdhsa_exception_int_div_zero 0
	.end_amdhsa_kernel
	.section	.text._ZL26rocblas_haxpy_mod_8_kernelILi256E16rocblas_bfloat16PKPKS0_PKPS0_EviT0_lT1_llT2_lli,"axG",@progbits,_ZL26rocblas_haxpy_mod_8_kernelILi256E16rocblas_bfloat16PKPKS0_PKPS0_EviT0_lT1_llT2_lli,comdat
.Lfunc_end131:
	.size	_ZL26rocblas_haxpy_mod_8_kernelILi256E16rocblas_bfloat16PKPKS0_PKPS0_EviT0_lT1_llT2_lli, .Lfunc_end131-_ZL26rocblas_haxpy_mod_8_kernelILi256E16rocblas_bfloat16PKPKS0_PKPS0_EviT0_lT1_llT2_lli
                                        ; -- End function
	.set _ZL26rocblas_haxpy_mod_8_kernelILi256E16rocblas_bfloat16PKPKS0_PKPS0_EviT0_lT1_llT2_lli.num_vgpr, 5
	.set _ZL26rocblas_haxpy_mod_8_kernelILi256E16rocblas_bfloat16PKPKS0_PKPS0_EviT0_lT1_llT2_lli.num_agpr, 0
	.set _ZL26rocblas_haxpy_mod_8_kernelILi256E16rocblas_bfloat16PKPKS0_PKPS0_EviT0_lT1_llT2_lli.numbered_sgpr, 16
	.set _ZL26rocblas_haxpy_mod_8_kernelILi256E16rocblas_bfloat16PKPKS0_PKPS0_EviT0_lT1_llT2_lli.num_named_barrier, 0
	.set _ZL26rocblas_haxpy_mod_8_kernelILi256E16rocblas_bfloat16PKPKS0_PKPS0_EviT0_lT1_llT2_lli.private_seg_size, 0
	.set _ZL26rocblas_haxpy_mod_8_kernelILi256E16rocblas_bfloat16PKPKS0_PKPS0_EviT0_lT1_llT2_lli.uses_vcc, 1
	.set _ZL26rocblas_haxpy_mod_8_kernelILi256E16rocblas_bfloat16PKPKS0_PKPS0_EviT0_lT1_llT2_lli.uses_flat_scratch, 0
	.set _ZL26rocblas_haxpy_mod_8_kernelILi256E16rocblas_bfloat16PKPKS0_PKPS0_EviT0_lT1_llT2_lli.has_dyn_sized_stack, 0
	.set _ZL26rocblas_haxpy_mod_8_kernelILi256E16rocblas_bfloat16PKPKS0_PKPS0_EviT0_lT1_llT2_lli.has_recursion, 0
	.set _ZL26rocblas_haxpy_mod_8_kernelILi256E16rocblas_bfloat16PKPKS0_PKPS0_EviT0_lT1_llT2_lli.has_indirect_call, 0
	.section	.AMDGPU.csdata,"",@progbits
; Kernel info:
; codeLenInByte = 412
; TotalNumSgprs: 20
; NumVgprs: 5
; ScratchSize: 0
; MemoryBound: 0
; FloatMode: 240
; IeeeMode: 1
; LDSByteSize: 0 bytes/workgroup (compile time only)
; SGPRBlocks: 2
; VGPRBlocks: 1
; NumSGPRsForWavesPerEU: 20
; NumVGPRsForWavesPerEU: 5
; Occupancy: 10
; WaveLimiterHint : 1
; COMPUTE_PGM_RSRC2:SCRATCH_EN: 0
; COMPUTE_PGM_RSRC2:USER_SGPR: 6
; COMPUTE_PGM_RSRC2:TRAP_HANDLER: 0
; COMPUTE_PGM_RSRC2:TGID_X_EN: 1
; COMPUTE_PGM_RSRC2:TGID_Y_EN: 0
; COMPUTE_PGM_RSRC2:TGID_Z_EN: 1
; COMPUTE_PGM_RSRC2:TIDIG_COMP_CNT: 0
	.section	.text._ZL22rocblas_saxpy_2_kernelILi256EfPK16rocblas_bfloat16PKS2_PKPS0_EviT1_lT2_llT3_lli,"axG",@progbits,_ZL22rocblas_saxpy_2_kernelILi256EfPK16rocblas_bfloat16PKS2_PKPS0_EviT1_lT2_llT3_lli,comdat
	.globl	_ZL22rocblas_saxpy_2_kernelILi256EfPK16rocblas_bfloat16PKS2_PKPS0_EviT1_lT2_llT3_lli ; -- Begin function _ZL22rocblas_saxpy_2_kernelILi256EfPK16rocblas_bfloat16PKS2_PKPS0_EviT1_lT2_llT3_lli
	.p2align	8
	.type	_ZL22rocblas_saxpy_2_kernelILi256EfPK16rocblas_bfloat16PKS2_PKPS0_EviT1_lT2_llT3_lli,@function
_ZL22rocblas_saxpy_2_kernelILi256EfPK16rocblas_bfloat16PKS2_PKPS0_EviT1_lT2_llT3_lli: ; @_ZL22rocblas_saxpy_2_kernelILi256EfPK16rocblas_bfloat16PKS2_PKPS0_EviT1_lT2_llT3_lli
; %bb.0:
	s_load_dwordx4 s[8:11], s[4:5], 0x8
	v_mov_b32_e32 v1, 0
	s_waitcnt lgkmcnt(0)
	s_mul_i32 s1, s11, s7
	s_mul_hi_u32 s2, s10, s7
	s_add_i32 s3, s2, s1
	s_mul_i32 s2, s10, s7
	s_lshl_b64 s[2:3], s[2:3], 1
	s_add_u32 s2, s8, s2
	s_addc_u32 s3, s9, s3
	global_load_ushort v8, v1, s[2:3]
	s_mov_b32 s1, 0
	s_waitcnt vmcnt(0)
	v_and_b32_e32 v2, 0x7fff, v8
	v_cmp_eq_u32_e32 vcc, 0, v2
	s_cbranch_vccnz .LBB132_29
; %bb.1:
	s_load_dwordx4 s[12:15], s[4:5], 0x18
	s_load_dword s9, s[4:5], 0x0
	s_mov_b32 s0, s7
	s_lshl_b64 s[10:11], s[0:1], 3
	v_lshlrev_b32_e32 v0, 1, v0
	s_waitcnt lgkmcnt(0)
	s_add_u32 s12, s12, s10
	s_addc_u32 s13, s13, s11
	s_load_dwordx2 s[16:17], s[12:13], 0x0
	s_load_dwordx4 s[0:3], s[4:5], 0x30
	s_lshl_b64 s[4:5], s[14:15], 1
	v_lshl_or_b32 v0, s6, 9, v0
	v_lshlrev_b64 v[2:3], 1, v[0:1]
	s_waitcnt lgkmcnt(0)
	s_add_u32 s7, s16, s4
	s_addc_u32 s8, s17, s5
	s_add_u32 s0, s0, s10
	s_addc_u32 s1, s1, s11
	s_load_dwordx2 s[0:1], s[0:1], 0x0
	s_lshl_b64 s[2:3], s[2:3], 1
	s_waitcnt lgkmcnt(0)
	s_add_u32 s6, s0, s2
	s_addc_u32 s10, s1, s3
	s_add_i32 s0, s9, -1
	s_ashr_i32 s1, s0, 31
	v_cmp_gt_i64_e32 vcc, s[0:1], v[0:1]
	s_and_saveexec_b64 s[2:3], vcc
	s_cbranch_execz .LBB132_19
; %bb.2:
	v_mov_b32_e32 v4, s8
	v_add_co_u32_e32 v6, vcc, s7, v2
	v_addc_co_u32_e32 v7, vcc, v4, v3, vcc
	flat_load_ushort v11, v[6:7]
	v_mov_b32_e32 v5, s10
	v_add_co_u32_e32 v4, vcc, s6, v2
	v_addc_co_u32_e32 v5, vcc, v5, v3, vcc
	flat_load_ushort v10, v[4:5]
	v_mov_b32_e32 v9, 16
	v_lshlrev_b32_sdwa v9, v9, v8 dst_sel:DWORD dst_unused:UNUSED_PAD src0_sel:DWORD src1_sel:WORD_0
	s_mov_b32 s4, 0x7f800000
	s_waitcnt vmcnt(0) lgkmcnt(0)
	v_lshlrev_b32_e32 v11, 16, v11
	v_mul_f32_e32 v11, v9, v11
	v_and_b32_e32 v12, 0x7f800000, v11
	v_cmp_ne_u32_e32 vcc, s4, v12
                                        ; implicit-def: $vgpr12
	s_and_saveexec_b64 s[4:5], vcc
	s_xor_b64 s[4:5], exec, s[4:5]
; %bb.3:
	v_bfe_u32 v12, v11, 16, 1
	s_movk_i32 s11, 0x7fff
	v_add3_u32 v12, v11, v12, s11
                                        ; implicit-def: $vgpr11
; %bb.4:
	s_andn2_saveexec_b64 s[4:5], s[4:5]
; %bb.5:
	v_mov_b32_e32 v12, 0
	v_or_b32_e32 v13, 0x10000, v11
	v_cmp_eq_u32_sdwa vcc, v11, v12 src0_sel:WORD_0 src1_sel:DWORD
	v_cndmask_b32_e32 v12, v13, v11, vcc
; %bb.6:
	s_or_b64 exec, exec, s[4:5]
	v_and_b32_e32 v11, 0xffff0000, v12
	v_lshlrev_b32_e32 v10, 16, v10
	v_add_f32_e32 v10, v10, v11
	s_mov_b32 s4, 0x7f800000
	v_and_b32_e32 v11, 0x7f800000, v10
	v_cmp_ne_u32_e32 vcc, s4, v11
                                        ; implicit-def: $vgpr11
	s_and_saveexec_b64 s[4:5], vcc
	s_xor_b64 s[4:5], exec, s[4:5]
; %bb.7:
	v_bfe_u32 v11, v10, 16, 1
	s_movk_i32 s11, 0x7fff
	v_add3_u32 v11, v10, v11, s11
                                        ; implicit-def: $vgpr10
; %bb.8:
	s_andn2_saveexec_b64 s[4:5], s[4:5]
; %bb.9:
	v_mov_b32_e32 v11, 0
	v_or_b32_e32 v12, 0x10000, v10
	v_cmp_eq_u32_sdwa vcc, v10, v11 src0_sel:WORD_0 src1_sel:DWORD
	v_cndmask_b32_e32 v11, v12, v10, vcc
; %bb.10:
	s_or_b64 exec, exec, s[4:5]
	flat_store_short_d16_hi v[4:5], v11
	flat_load_ushort v11, v[6:7] offset:2
	s_nop 0
	flat_load_ushort v10, v[4:5] offset:2
	s_mov_b32 s4, 0x7f800000
	s_waitcnt vmcnt(0) lgkmcnt(0)
	v_lshlrev_b32_e32 v6, 16, v11
	v_mul_f32_e32 v6, v9, v6
	v_and_b32_e32 v7, 0x7f800000, v6
	v_cmp_ne_u32_e32 vcc, s4, v7
                                        ; implicit-def: $vgpr7
	s_and_saveexec_b64 s[4:5], vcc
	s_xor_b64 s[4:5], exec, s[4:5]
; %bb.11:
	v_bfe_u32 v7, v6, 16, 1
	s_movk_i32 s11, 0x7fff
	v_add3_u32 v7, v6, v7, s11
                                        ; implicit-def: $vgpr6
; %bb.12:
	s_andn2_saveexec_b64 s[4:5], s[4:5]
; %bb.13:
	v_mov_b32_e32 v7, 0
	v_or_b32_e32 v9, 0x10000, v6
	v_cmp_eq_u32_sdwa vcc, v6, v7 src0_sel:WORD_0 src1_sel:DWORD
	v_cndmask_b32_e32 v7, v9, v6, vcc
; %bb.14:
	s_or_b64 exec, exec, s[4:5]
	v_and_b32_e32 v6, 0xffff0000, v7
	v_lshlrev_b32_e32 v7, 16, v10
	v_add_f32_e32 v6, v7, v6
	s_mov_b32 s4, 0x7f800000
	v_and_b32_e32 v7, 0x7f800000, v6
	v_cmp_ne_u32_e32 vcc, s4, v7
                                        ; implicit-def: $vgpr7
	s_and_saveexec_b64 s[4:5], vcc
	s_xor_b64 s[4:5], exec, s[4:5]
; %bb.15:
	v_bfe_u32 v7, v6, 16, 1
	s_movk_i32 s11, 0x7fff
	v_add3_u32 v7, v6, v7, s11
                                        ; implicit-def: $vgpr6
; %bb.16:
	s_andn2_saveexec_b64 s[4:5], s[4:5]
; %bb.17:
	v_mov_b32_e32 v7, 0
	v_or_b32_e32 v9, 0x10000, v6
	v_cmp_eq_u32_sdwa vcc, v6, v7 src0_sel:WORD_0 src1_sel:DWORD
	v_cndmask_b32_e32 v7, v9, v6, vcc
; %bb.18:
	s_or_b64 exec, exec, s[4:5]
	flat_store_short_d16_hi v[4:5], v7 offset:2
.LBB132_19:
	s_or_b64 exec, exec, s[2:3]
	s_bitcmp1_b32 s9, 0
	v_cmp_eq_u64_e32 vcc, s[0:1], v[0:1]
	s_cselect_b64 s[0:1], -1, 0
	s_and_b64 s[0:1], s[0:1], vcc
	s_and_saveexec_b64 s[2:3], s[0:1]
	s_cbranch_execz .LBB132_29
; %bb.20:
	v_mov_b32_e32 v1, s8
	v_add_co_u32_e32 v0, vcc, s7, v2
	v_addc_co_u32_e32 v1, vcc, v1, v3, vcc
	flat_load_ushort v5, v[0:1]
	v_mov_b32_e32 v4, s10
	v_add_co_u32_e32 v0, vcc, s6, v2
	v_addc_co_u32_e32 v1, vcc, v4, v3, vcc
	flat_load_ushort v2, v[0:1]
	v_mov_b32_e32 v3, 16
	v_lshlrev_b32_sdwa v3, v3, v8 dst_sel:DWORD dst_unused:UNUSED_PAD src0_sel:DWORD src1_sel:WORD_0
	s_mov_b32 s0, 0x7f800000
	s_waitcnt vmcnt(0) lgkmcnt(0)
	v_lshlrev_b32_e32 v4, 16, v5
	v_mul_f32_e32 v3, v3, v4
	v_and_b32_e32 v4, 0x7f800000, v3
	v_cmp_ne_u32_e32 vcc, s0, v4
                                        ; implicit-def: $vgpr4
	s_and_saveexec_b64 s[0:1], vcc
	s_xor_b64 s[0:1], exec, s[0:1]
; %bb.21:
	v_bfe_u32 v4, v3, 16, 1
	s_movk_i32 s2, 0x7fff
	v_add3_u32 v4, v3, v4, s2
                                        ; implicit-def: $vgpr3
; %bb.22:
	s_andn2_saveexec_b64 s[0:1], s[0:1]
; %bb.23:
	v_mov_b32_e32 v4, 0
	v_or_b32_e32 v5, 0x10000, v3
	v_cmp_eq_u32_sdwa vcc, v3, v4 src0_sel:WORD_0 src1_sel:DWORD
	v_cndmask_b32_e32 v4, v5, v3, vcc
; %bb.24:
	s_or_b64 exec, exec, s[0:1]
	v_and_b32_e32 v3, 0xffff0000, v4
	v_lshlrev_b32_e32 v2, 16, v2
	v_add_f32_e32 v2, v2, v3
	s_mov_b32 s0, 0x7f800000
	v_and_b32_e32 v3, 0x7f800000, v2
	v_cmp_ne_u32_e32 vcc, s0, v3
                                        ; implicit-def: $vgpr3
	s_and_saveexec_b64 s[0:1], vcc
	s_xor_b64 s[0:1], exec, s[0:1]
; %bb.25:
	v_bfe_u32 v3, v2, 16, 1
	s_movk_i32 s2, 0x7fff
	v_add3_u32 v3, v2, v3, s2
                                        ; implicit-def: $vgpr2
; %bb.26:
	s_andn2_saveexec_b64 s[0:1], s[0:1]
; %bb.27:
	v_mov_b32_e32 v3, 0
	v_or_b32_e32 v4, 0x10000, v2
	v_cmp_eq_u32_sdwa vcc, v2, v3 src0_sel:WORD_0 src1_sel:DWORD
	v_cndmask_b32_e32 v3, v4, v2, vcc
; %bb.28:
	s_or_b64 exec, exec, s[0:1]
	flat_store_short_d16_hi v[0:1], v3
.LBB132_29:
	s_endpgm
	.section	.rodata,"a",@progbits
	.p2align	6, 0x0
	.amdhsa_kernel _ZL22rocblas_saxpy_2_kernelILi256EfPK16rocblas_bfloat16PKS2_PKPS0_EviT1_lT2_llT3_lli
		.amdhsa_group_segment_fixed_size 0
		.amdhsa_private_segment_fixed_size 0
		.amdhsa_kernarg_size 76
		.amdhsa_user_sgpr_count 6
		.amdhsa_user_sgpr_private_segment_buffer 1
		.amdhsa_user_sgpr_dispatch_ptr 0
		.amdhsa_user_sgpr_queue_ptr 0
		.amdhsa_user_sgpr_kernarg_segment_ptr 1
		.amdhsa_user_sgpr_dispatch_id 0
		.amdhsa_user_sgpr_flat_scratch_init 0
		.amdhsa_user_sgpr_private_segment_size 0
		.amdhsa_uses_dynamic_stack 0
		.amdhsa_system_sgpr_private_segment_wavefront_offset 0
		.amdhsa_system_sgpr_workgroup_id_x 1
		.amdhsa_system_sgpr_workgroup_id_y 0
		.amdhsa_system_sgpr_workgroup_id_z 1
		.amdhsa_system_sgpr_workgroup_info 0
		.amdhsa_system_vgpr_workitem_id 0
		.amdhsa_next_free_vgpr 14
		.amdhsa_next_free_sgpr 18
		.amdhsa_reserve_vcc 1
		.amdhsa_reserve_flat_scratch 0
		.amdhsa_float_round_mode_32 0
		.amdhsa_float_round_mode_16_64 0
		.amdhsa_float_denorm_mode_32 3
		.amdhsa_float_denorm_mode_16_64 3
		.amdhsa_dx10_clamp 1
		.amdhsa_ieee_mode 1
		.amdhsa_fp16_overflow 0
		.amdhsa_exception_fp_ieee_invalid_op 0
		.amdhsa_exception_fp_denorm_src 0
		.amdhsa_exception_fp_ieee_div_zero 0
		.amdhsa_exception_fp_ieee_overflow 0
		.amdhsa_exception_fp_ieee_underflow 0
		.amdhsa_exception_fp_ieee_inexact 0
		.amdhsa_exception_int_div_zero 0
	.end_amdhsa_kernel
	.section	.text._ZL22rocblas_saxpy_2_kernelILi256EfPK16rocblas_bfloat16PKS2_PKPS0_EviT1_lT2_llT3_lli,"axG",@progbits,_ZL22rocblas_saxpy_2_kernelILi256EfPK16rocblas_bfloat16PKS2_PKPS0_EviT1_lT2_llT3_lli,comdat
.Lfunc_end132:
	.size	_ZL22rocblas_saxpy_2_kernelILi256EfPK16rocblas_bfloat16PKS2_PKPS0_EviT1_lT2_llT3_lli, .Lfunc_end132-_ZL22rocblas_saxpy_2_kernelILi256EfPK16rocblas_bfloat16PKS2_PKPS0_EviT1_lT2_llT3_lli
                                        ; -- End function
	.set _ZL22rocblas_saxpy_2_kernelILi256EfPK16rocblas_bfloat16PKS2_PKPS0_EviT1_lT2_llT3_lli.num_vgpr, 14
	.set _ZL22rocblas_saxpy_2_kernelILi256EfPK16rocblas_bfloat16PKS2_PKPS0_EviT1_lT2_llT3_lli.num_agpr, 0
	.set _ZL22rocblas_saxpy_2_kernelILi256EfPK16rocblas_bfloat16PKS2_PKPS0_EviT1_lT2_llT3_lli.numbered_sgpr, 18
	.set _ZL22rocblas_saxpy_2_kernelILi256EfPK16rocblas_bfloat16PKS2_PKPS0_EviT1_lT2_llT3_lli.num_named_barrier, 0
	.set _ZL22rocblas_saxpy_2_kernelILi256EfPK16rocblas_bfloat16PKS2_PKPS0_EviT1_lT2_llT3_lli.private_seg_size, 0
	.set _ZL22rocblas_saxpy_2_kernelILi256EfPK16rocblas_bfloat16PKS2_PKPS0_EviT1_lT2_llT3_lli.uses_vcc, 1
	.set _ZL22rocblas_saxpy_2_kernelILi256EfPK16rocblas_bfloat16PKS2_PKPS0_EviT1_lT2_llT3_lli.uses_flat_scratch, 0
	.set _ZL22rocblas_saxpy_2_kernelILi256EfPK16rocblas_bfloat16PKS2_PKPS0_EviT1_lT2_llT3_lli.has_dyn_sized_stack, 0
	.set _ZL22rocblas_saxpy_2_kernelILi256EfPK16rocblas_bfloat16PKS2_PKPS0_EviT1_lT2_llT3_lli.has_recursion, 0
	.set _ZL22rocblas_saxpy_2_kernelILi256EfPK16rocblas_bfloat16PKS2_PKPS0_EviT1_lT2_llT3_lli.has_indirect_call, 0
	.section	.AMDGPU.csdata,"",@progbits
; Kernel info:
; codeLenInByte = 960
; TotalNumSgprs: 22
; NumVgprs: 14
; ScratchSize: 0
; MemoryBound: 0
; FloatMode: 240
; IeeeMode: 1
; LDSByteSize: 0 bytes/workgroup (compile time only)
; SGPRBlocks: 2
; VGPRBlocks: 3
; NumSGPRsForWavesPerEU: 22
; NumVGPRsForWavesPerEU: 14
; Occupancy: 10
; WaveLimiterHint : 1
; COMPUTE_PGM_RSRC2:SCRATCH_EN: 0
; COMPUTE_PGM_RSRC2:USER_SGPR: 6
; COMPUTE_PGM_RSRC2:TRAP_HANDLER: 0
; COMPUTE_PGM_RSRC2:TGID_X_EN: 1
; COMPUTE_PGM_RSRC2:TGID_Y_EN: 0
; COMPUTE_PGM_RSRC2:TGID_Z_EN: 1
; COMPUTE_PGM_RSRC2:TIDIG_COMP_CNT: 0
	.section	.text._ZL22rocblas_saxpy_2_kernelILi256Ef16rocblas_bfloat16PKPKS0_PKPS0_EviT1_lT2_llT3_lli,"axG",@progbits,_ZL22rocblas_saxpy_2_kernelILi256Ef16rocblas_bfloat16PKPKS0_PKPS0_EviT1_lT2_llT3_lli,comdat
	.globl	_ZL22rocblas_saxpy_2_kernelILi256Ef16rocblas_bfloat16PKPKS0_PKPS0_EviT1_lT2_llT3_lli ; -- Begin function _ZL22rocblas_saxpy_2_kernelILi256Ef16rocblas_bfloat16PKPKS0_PKPS0_EviT1_lT2_llT3_lli
	.p2align	8
	.type	_ZL22rocblas_saxpy_2_kernelILi256Ef16rocblas_bfloat16PKPKS0_PKPS0_EviT1_lT2_llT3_lli,@function
_ZL22rocblas_saxpy_2_kernelILi256Ef16rocblas_bfloat16PKPKS0_PKPS0_EviT1_lT2_llT3_lli: ; @_ZL22rocblas_saxpy_2_kernelILi256Ef16rocblas_bfloat16PKPKS0_PKPS0_EviT1_lT2_llT3_lli
; %bb.0:
	s_load_dwordx2 s[0:1], s[4:5], 0x0
	s_waitcnt lgkmcnt(0)
	s_and_b32 s3, s1, 0x7fff
	s_cmp_eq_u32 s3, 0
	s_mov_b32 s3, 0
	s_cbranch_scc1 .LBB133_29
; %bb.1:
	s_load_dwordx4 s[8:11], s[4:5], 0x10
	s_load_dwordx4 s[12:15], s[4:5], 0x28
	s_mov_b32 s2, s7
	s_lshl_b64 s[2:3], s[2:3], 3
	v_lshlrev_b32_e32 v0, 1, v0
	s_waitcnt lgkmcnt(0)
	s_add_u32 s4, s8, s2
	s_addc_u32 s5, s9, s3
	s_load_dwordx2 s[4:5], s[4:5], 0x0
	s_lshl_b64 s[8:9], s[10:11], 1
	v_mov_b32_e32 v3, 0
	v_lshl_or_b32 v2, s6, 9, v0
	v_lshlrev_b64 v[0:1], 1, v[2:3]
	s_waitcnt lgkmcnt(0)
	s_add_u32 s8, s4, s8
	s_addc_u32 s9, s5, s9
	s_add_u32 s2, s12, s2
	s_addc_u32 s3, s13, s3
	s_load_dwordx2 s[2:3], s[2:3], 0x0
	s_lshl_b64 s[4:5], s[14:15], 1
	s_waitcnt lgkmcnt(0)
	s_add_u32 s10, s2, s4
	s_addc_u32 s11, s3, s5
	s_add_i32 s2, s0, -1
	s_ashr_i32 s3, s2, 31
	v_cmp_gt_i64_e32 vcc, s[2:3], v[2:3]
	s_and_saveexec_b64 s[4:5], vcc
	s_cbranch_execz .LBB133_19
; %bb.2:
	v_mov_b32_e32 v4, s9
	v_add_co_u32_e32 v6, vcc, s8, v0
	v_addc_co_u32_e32 v7, vcc, v4, v1, vcc
	flat_load_ushort v9, v[6:7]
	v_mov_b32_e32 v5, s11
	v_add_co_u32_e32 v4, vcc, s10, v0
	v_addc_co_u32_e32 v5, vcc, v5, v1, vcc
	flat_load_ushort v8, v[4:5]
	s_lshl_b32 s12, s1, 16
	s_mov_b32 s6, 0x7f800000
	s_waitcnt vmcnt(0) lgkmcnt(0)
	v_lshlrev_b32_e32 v9, 16, v9
	v_mul_f32_e32 v9, s12, v9
	v_and_b32_e32 v10, 0x7f800000, v9
	v_cmp_ne_u32_e32 vcc, s6, v10
                                        ; implicit-def: $vgpr10
	s_and_saveexec_b64 s[6:7], vcc
	s_xor_b64 s[6:7], exec, s[6:7]
; %bb.3:
	v_bfe_u32 v10, v9, 16, 1
	s_movk_i32 s13, 0x7fff
	v_add3_u32 v10, v9, v10, s13
                                        ; implicit-def: $vgpr9
; %bb.4:
	s_andn2_saveexec_b64 s[6:7], s[6:7]
; %bb.5:
	v_mov_b32_e32 v10, 0
	v_or_b32_e32 v11, 0x10000, v9
	v_cmp_eq_u32_sdwa vcc, v9, v10 src0_sel:WORD_0 src1_sel:DWORD
	v_cndmask_b32_e32 v10, v11, v9, vcc
; %bb.6:
	s_or_b64 exec, exec, s[6:7]
	v_and_b32_e32 v9, 0xffff0000, v10
	v_lshlrev_b32_e32 v8, 16, v8
	v_add_f32_e32 v8, v8, v9
	s_mov_b32 s6, 0x7f800000
	v_and_b32_e32 v9, 0x7f800000, v8
	v_cmp_ne_u32_e32 vcc, s6, v9
                                        ; implicit-def: $vgpr9
	s_and_saveexec_b64 s[6:7], vcc
	s_xor_b64 s[6:7], exec, s[6:7]
; %bb.7:
	v_bfe_u32 v9, v8, 16, 1
	s_movk_i32 s13, 0x7fff
	v_add3_u32 v9, v8, v9, s13
                                        ; implicit-def: $vgpr8
; %bb.8:
	s_andn2_saveexec_b64 s[6:7], s[6:7]
; %bb.9:
	v_mov_b32_e32 v9, 0
	v_or_b32_e32 v10, 0x10000, v8
	v_cmp_eq_u32_sdwa vcc, v8, v9 src0_sel:WORD_0 src1_sel:DWORD
	v_cndmask_b32_e32 v9, v10, v8, vcc
; %bb.10:
	s_or_b64 exec, exec, s[6:7]
	flat_store_short_d16_hi v[4:5], v9
	flat_load_ushort v9, v[6:7] offset:2
	s_nop 0
	flat_load_ushort v8, v[4:5] offset:2
	s_mov_b32 s6, 0x7f800000
	s_waitcnt vmcnt(0) lgkmcnt(0)
	v_lshlrev_b32_e32 v6, 16, v9
	v_mul_f32_e32 v6, s12, v6
	v_and_b32_e32 v7, 0x7f800000, v6
	v_cmp_ne_u32_e32 vcc, s6, v7
                                        ; implicit-def: $vgpr7
	s_and_saveexec_b64 s[6:7], vcc
	s_xor_b64 s[6:7], exec, s[6:7]
; %bb.11:
	v_bfe_u32 v7, v6, 16, 1
	s_movk_i32 s12, 0x7fff
	v_add3_u32 v7, v6, v7, s12
                                        ; implicit-def: $vgpr6
; %bb.12:
	s_andn2_saveexec_b64 s[6:7], s[6:7]
; %bb.13:
	v_mov_b32_e32 v7, 0
	v_or_b32_e32 v9, 0x10000, v6
	v_cmp_eq_u32_sdwa vcc, v6, v7 src0_sel:WORD_0 src1_sel:DWORD
	v_cndmask_b32_e32 v7, v9, v6, vcc
; %bb.14:
	s_or_b64 exec, exec, s[6:7]
	v_and_b32_e32 v6, 0xffff0000, v7
	v_lshlrev_b32_e32 v7, 16, v8
	v_add_f32_e32 v6, v7, v6
	s_mov_b32 s6, 0x7f800000
	v_and_b32_e32 v7, 0x7f800000, v6
	v_cmp_ne_u32_e32 vcc, s6, v7
                                        ; implicit-def: $vgpr7
	s_and_saveexec_b64 s[6:7], vcc
	s_xor_b64 s[6:7], exec, s[6:7]
; %bb.15:
	v_bfe_u32 v7, v6, 16, 1
	s_movk_i32 s12, 0x7fff
	v_add3_u32 v7, v6, v7, s12
                                        ; implicit-def: $vgpr6
; %bb.16:
	s_andn2_saveexec_b64 s[6:7], s[6:7]
; %bb.17:
	v_mov_b32_e32 v7, 0
	v_or_b32_e32 v8, 0x10000, v6
	v_cmp_eq_u32_sdwa vcc, v6, v7 src0_sel:WORD_0 src1_sel:DWORD
	v_cndmask_b32_e32 v7, v8, v6, vcc
; %bb.18:
	s_or_b64 exec, exec, s[6:7]
	flat_store_short_d16_hi v[4:5], v7 offset:2
.LBB133_19:
	s_or_b64 exec, exec, s[4:5]
	s_bitcmp1_b32 s0, 0
	v_cmp_eq_u64_e32 vcc, s[2:3], v[2:3]
	s_cselect_b64 s[2:3], -1, 0
	s_and_b64 s[2:3], s[2:3], vcc
	s_and_saveexec_b64 s[4:5], s[2:3]
	s_cbranch_execz .LBB133_29
; %bb.20:
	v_mov_b32_e32 v3, s9
	v_add_co_u32_e32 v2, vcc, s8, v0
	v_addc_co_u32_e32 v3, vcc, v3, v1, vcc
	flat_load_ushort v3, v[2:3]
	v_mov_b32_e32 v4, s11
	v_add_co_u32_e32 v0, vcc, s10, v0
	v_addc_co_u32_e32 v1, vcc, v4, v1, vcc
	flat_load_ushort v2, v[0:1]
	s_lshl_b32 s0, s1, 16
	s_waitcnt vmcnt(0) lgkmcnt(0)
	v_lshlrev_b32_e32 v3, 16, v3
	v_mul_f32_e32 v3, s0, v3
	s_mov_b32 s0, 0x7f800000
	v_and_b32_e32 v4, 0x7f800000, v3
	v_cmp_ne_u32_e32 vcc, s0, v4
                                        ; implicit-def: $vgpr4
	s_and_saveexec_b64 s[0:1], vcc
	s_xor_b64 s[0:1], exec, s[0:1]
; %bb.21:
	v_bfe_u32 v4, v3, 16, 1
	s_movk_i32 s2, 0x7fff
	v_add3_u32 v4, v3, v4, s2
                                        ; implicit-def: $vgpr3
; %bb.22:
	s_andn2_saveexec_b64 s[0:1], s[0:1]
; %bb.23:
	v_mov_b32_e32 v4, 0
	v_or_b32_e32 v5, 0x10000, v3
	v_cmp_eq_u32_sdwa vcc, v3, v4 src0_sel:WORD_0 src1_sel:DWORD
	v_cndmask_b32_e32 v4, v5, v3, vcc
; %bb.24:
	s_or_b64 exec, exec, s[0:1]
	v_and_b32_e32 v3, 0xffff0000, v4
	v_lshlrev_b32_e32 v2, 16, v2
	v_add_f32_e32 v2, v2, v3
	s_mov_b32 s0, 0x7f800000
	v_and_b32_e32 v3, 0x7f800000, v2
	v_cmp_ne_u32_e32 vcc, s0, v3
                                        ; implicit-def: $vgpr3
	s_and_saveexec_b64 s[0:1], vcc
	s_xor_b64 s[0:1], exec, s[0:1]
; %bb.25:
	v_bfe_u32 v3, v2, 16, 1
	s_movk_i32 s2, 0x7fff
	v_add3_u32 v3, v2, v3, s2
                                        ; implicit-def: $vgpr2
; %bb.26:
	s_andn2_saveexec_b64 s[0:1], s[0:1]
; %bb.27:
	v_mov_b32_e32 v3, 0
	v_or_b32_e32 v4, 0x10000, v2
	v_cmp_eq_u32_sdwa vcc, v2, v3 src0_sel:WORD_0 src1_sel:DWORD
	v_cndmask_b32_e32 v3, v4, v2, vcc
; %bb.28:
	s_or_b64 exec, exec, s[0:1]
	flat_store_short_d16_hi v[0:1], v3
.LBB133_29:
	s_endpgm
	.section	.rodata,"a",@progbits
	.p2align	6, 0x0
	.amdhsa_kernel _ZL22rocblas_saxpy_2_kernelILi256Ef16rocblas_bfloat16PKPKS0_PKPS0_EviT1_lT2_llT3_lli
		.amdhsa_group_segment_fixed_size 0
		.amdhsa_private_segment_fixed_size 0
		.amdhsa_kernarg_size 68
		.amdhsa_user_sgpr_count 6
		.amdhsa_user_sgpr_private_segment_buffer 1
		.amdhsa_user_sgpr_dispatch_ptr 0
		.amdhsa_user_sgpr_queue_ptr 0
		.amdhsa_user_sgpr_kernarg_segment_ptr 1
		.amdhsa_user_sgpr_dispatch_id 0
		.amdhsa_user_sgpr_flat_scratch_init 0
		.amdhsa_user_sgpr_private_segment_size 0
		.amdhsa_uses_dynamic_stack 0
		.amdhsa_system_sgpr_private_segment_wavefront_offset 0
		.amdhsa_system_sgpr_workgroup_id_x 1
		.amdhsa_system_sgpr_workgroup_id_y 0
		.amdhsa_system_sgpr_workgroup_id_z 1
		.amdhsa_system_sgpr_workgroup_info 0
		.amdhsa_system_vgpr_workitem_id 0
		.amdhsa_next_free_vgpr 12
		.amdhsa_next_free_sgpr 16
		.amdhsa_reserve_vcc 1
		.amdhsa_reserve_flat_scratch 0
		.amdhsa_float_round_mode_32 0
		.amdhsa_float_round_mode_16_64 0
		.amdhsa_float_denorm_mode_32 3
		.amdhsa_float_denorm_mode_16_64 3
		.amdhsa_dx10_clamp 1
		.amdhsa_ieee_mode 1
		.amdhsa_fp16_overflow 0
		.amdhsa_exception_fp_ieee_invalid_op 0
		.amdhsa_exception_fp_denorm_src 0
		.amdhsa_exception_fp_ieee_div_zero 0
		.amdhsa_exception_fp_ieee_overflow 0
		.amdhsa_exception_fp_ieee_underflow 0
		.amdhsa_exception_fp_ieee_inexact 0
		.amdhsa_exception_int_div_zero 0
	.end_amdhsa_kernel
	.section	.text._ZL22rocblas_saxpy_2_kernelILi256Ef16rocblas_bfloat16PKPKS0_PKPS0_EviT1_lT2_llT3_lli,"axG",@progbits,_ZL22rocblas_saxpy_2_kernelILi256Ef16rocblas_bfloat16PKPKS0_PKPS0_EviT1_lT2_llT3_lli,comdat
.Lfunc_end133:
	.size	_ZL22rocblas_saxpy_2_kernelILi256Ef16rocblas_bfloat16PKPKS0_PKPS0_EviT1_lT2_llT3_lli, .Lfunc_end133-_ZL22rocblas_saxpy_2_kernelILi256Ef16rocblas_bfloat16PKPKS0_PKPS0_EviT1_lT2_llT3_lli
                                        ; -- End function
	.set _ZL22rocblas_saxpy_2_kernelILi256Ef16rocblas_bfloat16PKPKS0_PKPS0_EviT1_lT2_llT3_lli.num_vgpr, 12
	.set _ZL22rocblas_saxpy_2_kernelILi256Ef16rocblas_bfloat16PKPKS0_PKPS0_EviT1_lT2_llT3_lli.num_agpr, 0
	.set _ZL22rocblas_saxpy_2_kernelILi256Ef16rocblas_bfloat16PKPKS0_PKPS0_EviT1_lT2_llT3_lli.numbered_sgpr, 16
	.set _ZL22rocblas_saxpy_2_kernelILi256Ef16rocblas_bfloat16PKPKS0_PKPS0_EviT1_lT2_llT3_lli.num_named_barrier, 0
	.set _ZL22rocblas_saxpy_2_kernelILi256Ef16rocblas_bfloat16PKPKS0_PKPS0_EviT1_lT2_llT3_lli.private_seg_size, 0
	.set _ZL22rocblas_saxpy_2_kernelILi256Ef16rocblas_bfloat16PKPKS0_PKPS0_EviT1_lT2_llT3_lli.uses_vcc, 1
	.set _ZL22rocblas_saxpy_2_kernelILi256Ef16rocblas_bfloat16PKPKS0_PKPS0_EviT1_lT2_llT3_lli.uses_flat_scratch, 0
	.set _ZL22rocblas_saxpy_2_kernelILi256Ef16rocblas_bfloat16PKPKS0_PKPS0_EviT1_lT2_llT3_lli.has_dyn_sized_stack, 0
	.set _ZL22rocblas_saxpy_2_kernelILi256Ef16rocblas_bfloat16PKPKS0_PKPS0_EviT1_lT2_llT3_lli.has_recursion, 0
	.set _ZL22rocblas_saxpy_2_kernelILi256Ef16rocblas_bfloat16PKPKS0_PKPS0_EviT1_lT2_llT3_lli.has_indirect_call, 0
	.section	.AMDGPU.csdata,"",@progbits
; Kernel info:
; codeLenInByte = 896
; TotalNumSgprs: 20
; NumVgprs: 12
; ScratchSize: 0
; MemoryBound: 0
; FloatMode: 240
; IeeeMode: 1
; LDSByteSize: 0 bytes/workgroup (compile time only)
; SGPRBlocks: 2
; VGPRBlocks: 2
; NumSGPRsForWavesPerEU: 20
; NumVGPRsForWavesPerEU: 12
; Occupancy: 10
; WaveLimiterHint : 1
; COMPUTE_PGM_RSRC2:SCRATCH_EN: 0
; COMPUTE_PGM_RSRC2:USER_SGPR: 6
; COMPUTE_PGM_RSRC2:TRAP_HANDLER: 0
; COMPUTE_PGM_RSRC2:TGID_X_EN: 1
; COMPUTE_PGM_RSRC2:TGID_Y_EN: 0
; COMPUTE_PGM_RSRC2:TGID_Z_EN: 1
; COMPUTE_PGM_RSRC2:TIDIG_COMP_CNT: 0
	.section	.text._ZL27rocblas_axpy_kernel_batchedIiLi128ELi8EfPK16rocblas_bfloat16PKS2_PKPS0_EviT3_lT4_lT_lT5_lSA_li,"axG",@progbits,_ZL27rocblas_axpy_kernel_batchedIiLi128ELi8EfPK16rocblas_bfloat16PKS2_PKPS0_EviT3_lT4_lT_lT5_lSA_li,comdat
	.globl	_ZL27rocblas_axpy_kernel_batchedIiLi128ELi8EfPK16rocblas_bfloat16PKS2_PKPS0_EviT3_lT4_lT_lT5_lSA_li ; -- Begin function _ZL27rocblas_axpy_kernel_batchedIiLi128ELi8EfPK16rocblas_bfloat16PKS2_PKPS0_EviT3_lT4_lT_lT5_lSA_li
	.p2align	8
	.type	_ZL27rocblas_axpy_kernel_batchedIiLi128ELi8EfPK16rocblas_bfloat16PKS2_PKPS0_EviT3_lT4_lT_lT5_lSA_li,@function
_ZL27rocblas_axpy_kernel_batchedIiLi128ELi8EfPK16rocblas_bfloat16PKS2_PKPS0_EviT3_lT4_lT_lT5_lSA_li: ; @_ZL27rocblas_axpy_kernel_batchedIiLi128ELi8EfPK16rocblas_bfloat16PKS2_PKPS0_EviT3_lT4_lT_lT5_lSA_li
; %bb.0:
	s_load_dword s0, s[4:5], 0x0
	v_lshl_add_u32 v6, s6, 7, v0
	v_mov_b32_e32 v7, 0
	s_waitcnt lgkmcnt(0)
	s_ashr_i32 s1, s0, 31
	v_cmp_gt_i64_e32 vcc, s[0:1], v[6:7]
	s_and_saveexec_b64 s[0:1], vcc
	s_cbranch_execz .LBB134_45
; %bb.1:
	s_load_dword s6, s[4:5], 0x28
	s_load_dwordx8 s[8:15], s[4:5], 0x8
	s_load_dwordx4 s[0:3], s[4:5], 0x38
	s_load_dword s17, s[4:5], 0x48
	s_load_dword s16, s[4:5], 0x58
	s_waitcnt lgkmcnt(0)
	v_mad_u64_u32 v[2:3], s[4:5], s6, v6, 0
	s_ashr_i32 s18, s6, 31
	v_mad_u64_u32 v[4:5], s[4:5], s17, v6, 0
	v_mov_b32_e32 v0, v3
	s_ashr_i32 s6, s17, 31
	v_mad_u64_u32 v[7:8], s[4:5], s18, v6, v[0:1]
	v_mov_b32_e32 v0, v5
	v_mad_u64_u32 v[5:6], s[4:5], s6, v6, v[0:1]
	v_lshlrev_b32_e32 v0, 2, v1
	v_lshl_add_u32 v0, s7, 5, v0
	v_mov_b32_e32 v3, v7
	v_cmp_gt_u32_e32 vcc, s16, v0
	s_and_saveexec_b64 s[4:5], vcc
	s_cbranch_execz .LBB134_12
; %bb.2:
	v_mad_u64_u32 v[6:7], s[6:7], s10, v0, 0
	v_mov_b32_e32 v1, v7
	v_mad_u64_u32 v[7:8], s[6:7], s11, v0, v[1:2]
	v_mov_b32_e32 v1, s9
	v_lshlrev_b64 v[6:7], 1, v[6:7]
	v_add_co_u32_e32 v6, vcc, s8, v6
	v_addc_co_u32_e32 v7, vcc, v1, v7, vcc
	global_load_ushort v8, v[6:7], off
	s_waitcnt vmcnt(0)
	v_and_b32_e32 v1, 0x7fff, v8
	v_cmp_ne_u16_e32 vcc, 0, v1
	s_and_b64 exec, exec, vcc
	s_cbranch_execz .LBB134_12
; %bb.3:
	v_mov_b32_e32 v1, 0
	v_lshlrev_b64 v[6:7], 3, v[0:1]
	v_mov_b32_e32 v1, s13
	v_add_co_u32_e32 v9, vcc, s12, v6
	v_addc_co_u32_e32 v10, vcc, v1, v7, vcc
	global_load_dwordx2 v[9:10], v[9:10], off
	v_mov_b32_e32 v1, s1
	v_add_co_u32_e32 v6, vcc, s0, v6
	v_addc_co_u32_e32 v7, vcc, v1, v7, vcc
	global_load_dwordx2 v[6:7], v[6:7], off
	s_lshl_b64 s[6:7], s[14:15], 1
	v_mov_b32_e32 v1, s7
	s_lshl_b64 s[18:19], s[2:3], 1
	v_lshlrev_b64 v[11:12], 1, v[2:3]
	v_mov_b32_e32 v15, s19
	v_lshlrev_b64 v[13:14], 1, v[4:5]
	v_lshlrev_b32_e32 v8, 16, v8
	s_waitcnt vmcnt(1)
	v_add_co_u32_e32 v9, vcc, s6, v9
	v_addc_co_u32_e32 v1, vcc, v10, v1, vcc
	s_mov_b32 s6, 0x7f800000
	s_waitcnt vmcnt(0)
	v_add_co_u32_e32 v10, vcc, s18, v6
	v_addc_co_u32_e32 v15, vcc, v7, v15, vcc
	v_add_co_u32_e32 v6, vcc, v9, v11
	v_addc_co_u32_e32 v7, vcc, v1, v12, vcc
	flat_load_ushort v9, v[6:7]
	v_add_co_u32_e32 v6, vcc, v10, v13
	v_addc_co_u32_e32 v7, vcc, v15, v14, vcc
	flat_load_ushort v1, v[6:7]
	s_waitcnt vmcnt(0) lgkmcnt(0)
	v_lshlrev_b32_e32 v9, 16, v9
	v_mul_f32_e32 v8, v8, v9
	v_and_b32_e32 v9, 0x7f800000, v8
	v_cmp_ne_u32_e32 vcc, s6, v9
                                        ; implicit-def: $vgpr9
	s_and_saveexec_b64 s[6:7], vcc
	s_xor_b64 s[6:7], exec, s[6:7]
; %bb.4:
	v_bfe_u32 v9, v8, 16, 1
	s_movk_i32 s17, 0x7fff
	v_add3_u32 v9, v8, v9, s17
                                        ; implicit-def: $vgpr8
; %bb.5:
	s_andn2_saveexec_b64 s[6:7], s[6:7]
; %bb.6:
	v_mov_b32_e32 v9, 0
	v_or_b32_e32 v10, 0x10000, v8
	v_cmp_eq_u32_sdwa vcc, v8, v9 src0_sel:WORD_0 src1_sel:DWORD
	v_cndmask_b32_e32 v9, v10, v8, vcc
; %bb.7:
	s_or_b64 exec, exec, s[6:7]
	v_and_b32_e32 v8, 0xffff0000, v9
	v_lshlrev_b32_e32 v1, 16, v1
	v_add_f32_e32 v1, v1, v8
	s_mov_b32 s6, 0x7f800000
	v_and_b32_e32 v8, 0x7f800000, v1
	v_cmp_ne_u32_e32 vcc, s6, v8
                                        ; implicit-def: $vgpr8
	s_and_saveexec_b64 s[6:7], vcc
	s_xor_b64 s[6:7], exec, s[6:7]
; %bb.8:
	v_bfe_u32 v8, v1, 16, 1
	s_movk_i32 s17, 0x7fff
	v_add3_u32 v8, v1, v8, s17
                                        ; implicit-def: $vgpr1
; %bb.9:
	s_andn2_saveexec_b64 s[6:7], s[6:7]
; %bb.10:
	v_mov_b32_e32 v8, 0
	v_or_b32_e32 v9, 0x10000, v1
	v_cmp_eq_u32_sdwa vcc, v1, v8 src0_sel:WORD_0 src1_sel:DWORD
	v_cndmask_b32_e32 v8, v9, v1, vcc
; %bb.11:
	s_or_b64 exec, exec, s[6:7]
	flat_store_short_d16_hi v[6:7], v8
.LBB134_12:
	s_or_b64 exec, exec, s[4:5]
	v_or_b32_e32 v1, 1, v0
	v_cmp_gt_u32_e32 vcc, s16, v1
	s_and_saveexec_b64 s[4:5], vcc
	s_cbranch_execz .LBB134_23
; %bb.13:
	v_mad_u64_u32 v[6:7], s[6:7], s10, v1, 0
	v_mad_u64_u32 v[7:8], s[6:7], s11, v1, v[7:8]
	v_mov_b32_e32 v1, s9
	v_lshlrev_b64 v[6:7], 1, v[6:7]
	v_add_co_u32_e32 v6, vcc, s8, v6
	v_addc_co_u32_e32 v7, vcc, v1, v7, vcc
	global_load_ushort v8, v[6:7], off
	s_waitcnt vmcnt(0)
	v_and_b32_e32 v1, 0x7fff, v8
	v_cmp_ne_u16_e32 vcc, 0, v1
	s_and_b64 exec, exec, vcc
	s_cbranch_execz .LBB134_23
; %bb.14:
	v_mov_b32_e32 v1, 0
	v_lshlrev_b64 v[6:7], 3, v[0:1]
	v_mov_b32_e32 v1, s13
	v_add_co_u32_e32 v9, vcc, s12, v6
	v_addc_co_u32_e32 v10, vcc, v1, v7, vcc
	global_load_dwordx2 v[9:10], v[9:10], off offset:8
	v_mov_b32_e32 v1, s1
	v_add_co_u32_e32 v6, vcc, s0, v6
	v_addc_co_u32_e32 v7, vcc, v1, v7, vcc
	global_load_dwordx2 v[6:7], v[6:7], off offset:8
	s_lshl_b64 s[6:7], s[14:15], 1
	v_mov_b32_e32 v1, s7
	s_lshl_b64 s[18:19], s[2:3], 1
	v_lshlrev_b64 v[11:12], 1, v[2:3]
	v_mov_b32_e32 v15, s19
	v_lshlrev_b64 v[13:14], 1, v[4:5]
	v_lshlrev_b32_e32 v8, 16, v8
	s_waitcnt vmcnt(0)
	v_add_co_u32_e32 v9, vcc, s6, v9
	v_addc_co_u32_e32 v1, vcc, v10, v1, vcc
	s_mov_b32 s6, 0x7f800000
	v_add_co_u32_e32 v10, vcc, s18, v6
	v_addc_co_u32_e32 v15, vcc, v7, v15, vcc
	v_add_co_u32_e32 v6, vcc, v9, v11
	v_addc_co_u32_e32 v7, vcc, v1, v12, vcc
	flat_load_ushort v9, v[6:7]
	v_add_co_u32_e32 v6, vcc, v10, v13
	v_addc_co_u32_e32 v7, vcc, v15, v14, vcc
	flat_load_ushort v1, v[6:7]
	s_waitcnt vmcnt(0) lgkmcnt(0)
	v_lshlrev_b32_e32 v9, 16, v9
	v_mul_f32_e32 v8, v8, v9
	v_and_b32_e32 v9, 0x7f800000, v8
	v_cmp_ne_u32_e32 vcc, s6, v9
                                        ; implicit-def: $vgpr9
	s_and_saveexec_b64 s[6:7], vcc
	s_xor_b64 s[6:7], exec, s[6:7]
; %bb.15:
	v_bfe_u32 v9, v8, 16, 1
	s_movk_i32 s17, 0x7fff
	v_add3_u32 v9, v8, v9, s17
                                        ; implicit-def: $vgpr8
; %bb.16:
	s_andn2_saveexec_b64 s[6:7], s[6:7]
; %bb.17:
	v_mov_b32_e32 v9, 0
	v_or_b32_e32 v10, 0x10000, v8
	v_cmp_eq_u32_sdwa vcc, v8, v9 src0_sel:WORD_0 src1_sel:DWORD
	v_cndmask_b32_e32 v9, v10, v8, vcc
; %bb.18:
	s_or_b64 exec, exec, s[6:7]
	v_and_b32_e32 v8, 0xffff0000, v9
	v_lshlrev_b32_e32 v1, 16, v1
	v_add_f32_e32 v1, v1, v8
	s_mov_b32 s6, 0x7f800000
	v_and_b32_e32 v8, 0x7f800000, v1
	v_cmp_ne_u32_e32 vcc, s6, v8
                                        ; implicit-def: $vgpr8
	s_and_saveexec_b64 s[6:7], vcc
	s_xor_b64 s[6:7], exec, s[6:7]
; %bb.19:
	v_bfe_u32 v8, v1, 16, 1
	s_movk_i32 s17, 0x7fff
	v_add3_u32 v8, v1, v8, s17
                                        ; implicit-def: $vgpr1
; %bb.20:
	s_andn2_saveexec_b64 s[6:7], s[6:7]
; %bb.21:
	v_mov_b32_e32 v8, 0
	v_or_b32_e32 v9, 0x10000, v1
	v_cmp_eq_u32_sdwa vcc, v1, v8 src0_sel:WORD_0 src1_sel:DWORD
	v_cndmask_b32_e32 v8, v9, v1, vcc
; %bb.22:
	s_or_b64 exec, exec, s[6:7]
	flat_store_short_d16_hi v[6:7], v8
.LBB134_23:
	s_or_b64 exec, exec, s[4:5]
	v_or_b32_e32 v1, 2, v0
	v_cmp_gt_u32_e32 vcc, s16, v1
	s_and_saveexec_b64 s[4:5], vcc
	s_cbranch_execz .LBB134_34
; %bb.24:
	v_mad_u64_u32 v[6:7], s[6:7], s10, v1, 0
	v_mad_u64_u32 v[7:8], s[6:7], s11, v1, v[7:8]
	v_mov_b32_e32 v1, s9
	v_lshlrev_b64 v[6:7], 1, v[6:7]
	v_add_co_u32_e32 v6, vcc, s8, v6
	v_addc_co_u32_e32 v7, vcc, v1, v7, vcc
	global_load_ushort v8, v[6:7], off
	s_waitcnt vmcnt(0)
	v_and_b32_e32 v1, 0x7fff, v8
	v_cmp_ne_u16_e32 vcc, 0, v1
	s_and_b64 exec, exec, vcc
	s_cbranch_execz .LBB134_34
; %bb.25:
	v_mov_b32_e32 v1, 0
	v_lshlrev_b64 v[6:7], 3, v[0:1]
	v_mov_b32_e32 v1, s13
	v_add_co_u32_e32 v9, vcc, s12, v6
	v_addc_co_u32_e32 v10, vcc, v1, v7, vcc
	global_load_dwordx2 v[9:10], v[9:10], off offset:16
	v_mov_b32_e32 v1, s1
	v_add_co_u32_e32 v6, vcc, s0, v6
	v_addc_co_u32_e32 v7, vcc, v1, v7, vcc
	global_load_dwordx2 v[6:7], v[6:7], off offset:16
	s_lshl_b64 s[6:7], s[14:15], 1
	v_mov_b32_e32 v1, s7
	s_lshl_b64 s[18:19], s[2:3], 1
	v_lshlrev_b64 v[11:12], 1, v[2:3]
	v_mov_b32_e32 v15, s19
	v_lshlrev_b64 v[13:14], 1, v[4:5]
	v_lshlrev_b32_e32 v8, 16, v8
	s_waitcnt vmcnt(0)
	v_add_co_u32_e32 v9, vcc, s6, v9
	v_addc_co_u32_e32 v1, vcc, v10, v1, vcc
	s_mov_b32 s6, 0x7f800000
	v_add_co_u32_e32 v10, vcc, s18, v6
	v_addc_co_u32_e32 v15, vcc, v7, v15, vcc
	v_add_co_u32_e32 v6, vcc, v9, v11
	v_addc_co_u32_e32 v7, vcc, v1, v12, vcc
	flat_load_ushort v9, v[6:7]
	v_add_co_u32_e32 v6, vcc, v10, v13
	v_addc_co_u32_e32 v7, vcc, v15, v14, vcc
	flat_load_ushort v1, v[6:7]
	s_waitcnt vmcnt(0) lgkmcnt(0)
	v_lshlrev_b32_e32 v9, 16, v9
	v_mul_f32_e32 v8, v8, v9
	v_and_b32_e32 v9, 0x7f800000, v8
	v_cmp_ne_u32_e32 vcc, s6, v9
                                        ; implicit-def: $vgpr9
	s_and_saveexec_b64 s[6:7], vcc
	s_xor_b64 s[6:7], exec, s[6:7]
; %bb.26:
	v_bfe_u32 v9, v8, 16, 1
	s_movk_i32 s17, 0x7fff
	v_add3_u32 v9, v8, v9, s17
                                        ; implicit-def: $vgpr8
; %bb.27:
	s_andn2_saveexec_b64 s[6:7], s[6:7]
; %bb.28:
	v_mov_b32_e32 v9, 0
	v_or_b32_e32 v10, 0x10000, v8
	v_cmp_eq_u32_sdwa vcc, v8, v9 src0_sel:WORD_0 src1_sel:DWORD
	v_cndmask_b32_e32 v9, v10, v8, vcc
; %bb.29:
	s_or_b64 exec, exec, s[6:7]
	v_and_b32_e32 v8, 0xffff0000, v9
	v_lshlrev_b32_e32 v1, 16, v1
	v_add_f32_e32 v1, v1, v8
	s_mov_b32 s6, 0x7f800000
	v_and_b32_e32 v8, 0x7f800000, v1
	v_cmp_ne_u32_e32 vcc, s6, v8
                                        ; implicit-def: $vgpr8
	s_and_saveexec_b64 s[6:7], vcc
	s_xor_b64 s[6:7], exec, s[6:7]
; %bb.30:
	v_bfe_u32 v8, v1, 16, 1
	s_movk_i32 s17, 0x7fff
	v_add3_u32 v8, v1, v8, s17
                                        ; implicit-def: $vgpr1
; %bb.31:
	s_andn2_saveexec_b64 s[6:7], s[6:7]
; %bb.32:
	v_mov_b32_e32 v8, 0
	v_or_b32_e32 v9, 0x10000, v1
	v_cmp_eq_u32_sdwa vcc, v1, v8 src0_sel:WORD_0 src1_sel:DWORD
	v_cndmask_b32_e32 v8, v9, v1, vcc
; %bb.33:
	s_or_b64 exec, exec, s[6:7]
	flat_store_short_d16_hi v[6:7], v8
.LBB134_34:
	s_or_b64 exec, exec, s[4:5]
	v_or_b32_e32 v1, 3, v0
	v_cmp_gt_u32_e32 vcc, s16, v1
	s_and_b64 exec, exec, vcc
	s_cbranch_execz .LBB134_45
; %bb.35:
	v_mad_u64_u32 v[6:7], s[4:5], s10, v1, 0
	v_mad_u64_u32 v[7:8], s[4:5], s11, v1, v[7:8]
	v_mov_b32_e32 v1, s9
	v_lshlrev_b64 v[6:7], 1, v[6:7]
	v_add_co_u32_e32 v6, vcc, s8, v6
	v_addc_co_u32_e32 v7, vcc, v1, v7, vcc
	global_load_ushort v6, v[6:7], off
	s_waitcnt vmcnt(0)
	v_and_b32_e32 v1, 0x7fff, v6
	v_cmp_ne_u16_e32 vcc, 0, v1
	s_and_b64 exec, exec, vcc
	s_cbranch_execz .LBB134_45
; %bb.36:
	v_mov_b32_e32 v1, 0
	v_lshlrev_b64 v[0:1], 3, v[0:1]
	v_mov_b32_e32 v8, s13
	v_add_co_u32_e32 v7, vcc, s12, v0
	v_addc_co_u32_e32 v8, vcc, v8, v1, vcc
	global_load_dwordx2 v[7:8], v[7:8], off offset:24
	v_mov_b32_e32 v9, s1
	v_add_co_u32_e32 v0, vcc, s0, v0
	v_addc_co_u32_e32 v1, vcc, v9, v1, vcc
	global_load_dwordx2 v[0:1], v[0:1], off offset:24
	s_lshl_b64 s[0:1], s[14:15], 1
	v_mov_b32_e32 v9, s1
	s_lshl_b64 s[2:3], s[2:3], 1
	v_lshlrev_b64 v[2:3], 1, v[2:3]
	v_mov_b32_e32 v10, s3
	v_lshlrev_b64 v[4:5], 1, v[4:5]
	s_waitcnt vmcnt(0)
	v_add_co_u32_e32 v7, vcc, s0, v7
	v_addc_co_u32_e32 v8, vcc, v8, v9, vcc
	s_mov_b32 s0, 0x7f800000
	v_add_co_u32_e32 v9, vcc, s2, v0
	v_addc_co_u32_e32 v10, vcc, v1, v10, vcc
	v_add_co_u32_e32 v0, vcc, v7, v2
	v_addc_co_u32_e32 v1, vcc, v8, v3, vcc
	flat_load_ushort v3, v[0:1]
	v_add_co_u32_e32 v0, vcc, v9, v4
	v_addc_co_u32_e32 v1, vcc, v10, v5, vcc
	flat_load_ushort v2, v[0:1]
	v_lshlrev_b32_e32 v4, 16, v6
	s_waitcnt vmcnt(0) lgkmcnt(0)
	v_lshlrev_b32_e32 v3, 16, v3
	v_mul_f32_e32 v3, v4, v3
	v_and_b32_e32 v4, 0x7f800000, v3
	v_cmp_ne_u32_e32 vcc, s0, v4
                                        ; implicit-def: $vgpr4
	s_and_saveexec_b64 s[0:1], vcc
	s_xor_b64 s[0:1], exec, s[0:1]
; %bb.37:
	v_bfe_u32 v4, v3, 16, 1
	s_movk_i32 s2, 0x7fff
	v_add3_u32 v4, v3, v4, s2
                                        ; implicit-def: $vgpr3
; %bb.38:
	s_andn2_saveexec_b64 s[0:1], s[0:1]
; %bb.39:
	v_mov_b32_e32 v4, 0
	v_or_b32_e32 v5, 0x10000, v3
	v_cmp_eq_u32_sdwa vcc, v3, v4 src0_sel:WORD_0 src1_sel:DWORD
	v_cndmask_b32_e32 v4, v5, v3, vcc
; %bb.40:
	s_or_b64 exec, exec, s[0:1]
	v_and_b32_e32 v3, 0xffff0000, v4
	v_lshlrev_b32_e32 v2, 16, v2
	v_add_f32_e32 v2, v2, v3
	s_mov_b32 s0, 0x7f800000
	v_and_b32_e32 v3, 0x7f800000, v2
	v_cmp_ne_u32_e32 vcc, s0, v3
                                        ; implicit-def: $vgpr3
	s_and_saveexec_b64 s[0:1], vcc
	s_xor_b64 s[0:1], exec, s[0:1]
; %bb.41:
	v_bfe_u32 v3, v2, 16, 1
	s_movk_i32 s2, 0x7fff
	v_add3_u32 v3, v2, v3, s2
                                        ; implicit-def: $vgpr2
; %bb.42:
	s_andn2_saveexec_b64 s[0:1], s[0:1]
; %bb.43:
	v_mov_b32_e32 v3, 0
	v_or_b32_e32 v4, 0x10000, v2
	v_cmp_eq_u32_sdwa vcc, v2, v3 src0_sel:WORD_0 src1_sel:DWORD
	v_cndmask_b32_e32 v3, v4, v2, vcc
; %bb.44:
	s_or_b64 exec, exec, s[0:1]
	flat_store_short_d16_hi v[0:1], v3
.LBB134_45:
	s_endpgm
	.section	.rodata,"a",@progbits
	.p2align	6, 0x0
	.amdhsa_kernel _ZL27rocblas_axpy_kernel_batchedIiLi128ELi8EfPK16rocblas_bfloat16PKS2_PKPS0_EviT3_lT4_lT_lT5_lSA_li
		.amdhsa_group_segment_fixed_size 0
		.amdhsa_private_segment_fixed_size 0
		.amdhsa_kernarg_size 92
		.amdhsa_user_sgpr_count 6
		.amdhsa_user_sgpr_private_segment_buffer 1
		.amdhsa_user_sgpr_dispatch_ptr 0
		.amdhsa_user_sgpr_queue_ptr 0
		.amdhsa_user_sgpr_kernarg_segment_ptr 1
		.amdhsa_user_sgpr_dispatch_id 0
		.amdhsa_user_sgpr_flat_scratch_init 0
		.amdhsa_user_sgpr_private_segment_size 0
		.amdhsa_uses_dynamic_stack 0
		.amdhsa_system_sgpr_private_segment_wavefront_offset 0
		.amdhsa_system_sgpr_workgroup_id_x 1
		.amdhsa_system_sgpr_workgroup_id_y 0
		.amdhsa_system_sgpr_workgroup_id_z 1
		.amdhsa_system_sgpr_workgroup_info 0
		.amdhsa_system_vgpr_workitem_id 1
		.amdhsa_next_free_vgpr 16
		.amdhsa_next_free_sgpr 20
		.amdhsa_reserve_vcc 1
		.amdhsa_reserve_flat_scratch 0
		.amdhsa_float_round_mode_32 0
		.amdhsa_float_round_mode_16_64 0
		.amdhsa_float_denorm_mode_32 3
		.amdhsa_float_denorm_mode_16_64 3
		.amdhsa_dx10_clamp 1
		.amdhsa_ieee_mode 1
		.amdhsa_fp16_overflow 0
		.amdhsa_exception_fp_ieee_invalid_op 0
		.amdhsa_exception_fp_denorm_src 0
		.amdhsa_exception_fp_ieee_div_zero 0
		.amdhsa_exception_fp_ieee_overflow 0
		.amdhsa_exception_fp_ieee_underflow 0
		.amdhsa_exception_fp_ieee_inexact 0
		.amdhsa_exception_int_div_zero 0
	.end_amdhsa_kernel
	.section	.text._ZL27rocblas_axpy_kernel_batchedIiLi128ELi8EfPK16rocblas_bfloat16PKS2_PKPS0_EviT3_lT4_lT_lT5_lSA_li,"axG",@progbits,_ZL27rocblas_axpy_kernel_batchedIiLi128ELi8EfPK16rocblas_bfloat16PKS2_PKPS0_EviT3_lT4_lT_lT5_lSA_li,comdat
.Lfunc_end134:
	.size	_ZL27rocblas_axpy_kernel_batchedIiLi128ELi8EfPK16rocblas_bfloat16PKS2_PKPS0_EviT3_lT4_lT_lT5_lSA_li, .Lfunc_end134-_ZL27rocblas_axpy_kernel_batchedIiLi128ELi8EfPK16rocblas_bfloat16PKS2_PKPS0_EviT3_lT4_lT_lT5_lSA_li
                                        ; -- End function
	.set _ZL27rocblas_axpy_kernel_batchedIiLi128ELi8EfPK16rocblas_bfloat16PKS2_PKPS0_EviT3_lT4_lT_lT5_lSA_li.num_vgpr, 16
	.set _ZL27rocblas_axpy_kernel_batchedIiLi128ELi8EfPK16rocblas_bfloat16PKS2_PKPS0_EviT3_lT4_lT_lT5_lSA_li.num_agpr, 0
	.set _ZL27rocblas_axpy_kernel_batchedIiLi128ELi8EfPK16rocblas_bfloat16PKS2_PKPS0_EviT3_lT4_lT_lT5_lSA_li.numbered_sgpr, 20
	.set _ZL27rocblas_axpy_kernel_batchedIiLi128ELi8EfPK16rocblas_bfloat16PKS2_PKPS0_EviT3_lT4_lT_lT5_lSA_li.num_named_barrier, 0
	.set _ZL27rocblas_axpy_kernel_batchedIiLi128ELi8EfPK16rocblas_bfloat16PKS2_PKPS0_EviT3_lT4_lT_lT5_lSA_li.private_seg_size, 0
	.set _ZL27rocblas_axpy_kernel_batchedIiLi128ELi8EfPK16rocblas_bfloat16PKS2_PKPS0_EviT3_lT4_lT_lT5_lSA_li.uses_vcc, 1
	.set _ZL27rocblas_axpy_kernel_batchedIiLi128ELi8EfPK16rocblas_bfloat16PKS2_PKPS0_EviT3_lT4_lT_lT5_lSA_li.uses_flat_scratch, 0
	.set _ZL27rocblas_axpy_kernel_batchedIiLi128ELi8EfPK16rocblas_bfloat16PKS2_PKPS0_EviT3_lT4_lT_lT5_lSA_li.has_dyn_sized_stack, 0
	.set _ZL27rocblas_axpy_kernel_batchedIiLi128ELi8EfPK16rocblas_bfloat16PKS2_PKPS0_EviT3_lT4_lT_lT5_lSA_li.has_recursion, 0
	.set _ZL27rocblas_axpy_kernel_batchedIiLi128ELi8EfPK16rocblas_bfloat16PKS2_PKPS0_EviT3_lT4_lT_lT5_lSA_li.has_indirect_call, 0
	.section	.AMDGPU.csdata,"",@progbits
; Kernel info:
; codeLenInByte = 1848
; TotalNumSgprs: 24
; NumVgprs: 16
; ScratchSize: 0
; MemoryBound: 0
; FloatMode: 240
; IeeeMode: 1
; LDSByteSize: 0 bytes/workgroup (compile time only)
; SGPRBlocks: 2
; VGPRBlocks: 3
; NumSGPRsForWavesPerEU: 24
; NumVGPRsForWavesPerEU: 16
; Occupancy: 10
; WaveLimiterHint : 1
; COMPUTE_PGM_RSRC2:SCRATCH_EN: 0
; COMPUTE_PGM_RSRC2:USER_SGPR: 6
; COMPUTE_PGM_RSRC2:TRAP_HANDLER: 0
; COMPUTE_PGM_RSRC2:TGID_X_EN: 1
; COMPUTE_PGM_RSRC2:TGID_Y_EN: 0
; COMPUTE_PGM_RSRC2:TGID_Z_EN: 1
; COMPUTE_PGM_RSRC2:TIDIG_COMP_CNT: 1
	.section	.text._ZL27rocblas_axpy_kernel_batchedIiLi128ELi8Ef16rocblas_bfloat16PKPKS0_PKPS0_EviT3_lT4_lT_lT5_lSA_li,"axG",@progbits,_ZL27rocblas_axpy_kernel_batchedIiLi128ELi8Ef16rocblas_bfloat16PKPKS0_PKPS0_EviT3_lT4_lT_lT5_lSA_li,comdat
	.globl	_ZL27rocblas_axpy_kernel_batchedIiLi128ELi8Ef16rocblas_bfloat16PKPKS0_PKPS0_EviT3_lT4_lT_lT5_lSA_li ; -- Begin function _ZL27rocblas_axpy_kernel_batchedIiLi128ELi8Ef16rocblas_bfloat16PKPKS0_PKPS0_EviT3_lT4_lT_lT5_lSA_li
	.p2align	8
	.type	_ZL27rocblas_axpy_kernel_batchedIiLi128ELi8Ef16rocblas_bfloat16PKPKS0_PKPS0_EviT3_lT4_lT_lT5_lSA_li,@function
_ZL27rocblas_axpy_kernel_batchedIiLi128ELi8Ef16rocblas_bfloat16PKPKS0_PKPS0_EviT3_lT4_lT_lT5_lSA_li: ; @_ZL27rocblas_axpy_kernel_batchedIiLi128ELi8Ef16rocblas_bfloat16PKPKS0_PKPS0_EviT3_lT4_lT_lT5_lSA_li
; %bb.0:
	s_load_dwordx2 s[12:13], s[4:5], 0x0
	v_lshl_add_u32 v2, s6, 7, v0
	v_mov_b32_e32 v3, 0
	s_waitcnt lgkmcnt(0)
	s_ashr_i32 s1, s12, 31
	s_mov_b32 s0, s12
	v_cmp_gt_i64_e32 vcc, s[0:1], v[2:3]
	s_and_saveexec_b64 s[0:1], vcc
	s_cbranch_execz .LBB135_41
; %bb.1:
	s_load_dword s6, s[4:5], 0x20
	s_load_dwordx4 s[0:3], s[4:5], 0x10
	s_load_dwordx4 s[8:11], s[4:5], 0x30
	s_load_dword s12, s[4:5], 0x40
	s_load_dword s15, s[4:5], 0x50
	s_waitcnt lgkmcnt(0)
	v_mad_u64_u32 v[5:6], s[4:5], s6, v2, 0
	s_ashr_i32 s14, s6, 31
	v_mad_u64_u32 v[7:8], s[4:5], s12, v2, 0
	v_mov_b32_e32 v0, v6
	s_ashr_i32 s6, s12, 31
	v_mad_u64_u32 v[3:4], s[4:5], s14, v2, v[0:1]
	v_mov_b32_e32 v0, v8
	v_mad_u64_u32 v[8:9], s[4:5], s6, v2, v[0:1]
	v_lshlrev_b32_e32 v0, 2, v1
	s_and_b32 s4, s13, 0x7fff
	v_lshl_add_u32 v4, s7, 5, v0
	v_mov_b32_e32 v6, v3
	s_cmp_lg_u32 s4, 0
	s_cselect_b64 s[4:5], -1, 0
	v_cmp_gt_u32_e32 vcc, s15, v4
	v_lshlrev_b64 v[2:3], 1, v[5:6]
	v_lshlrev_b64 v[0:1], 1, v[7:8]
	s_lshl_b32 s14, s13, 16
	s_and_b64 s[12:13], vcc, s[4:5]
	s_and_saveexec_b64 s[6:7], s[12:13]
	s_cbranch_execz .LBB135_11
; %bb.2:
	v_mov_b32_e32 v5, 0
	v_lshlrev_b64 v[5:6], 3, v[4:5]
	v_mov_b32_e32 v8, s1
	v_add_co_u32_e32 v7, vcc, s0, v5
	v_addc_co_u32_e32 v8, vcc, v8, v6, vcc
	global_load_dwordx2 v[7:8], v[7:8], off
	v_mov_b32_e32 v9, s9
	v_add_co_u32_e32 v5, vcc, s8, v5
	v_addc_co_u32_e32 v6, vcc, v9, v6, vcc
	global_load_dwordx2 v[5:6], v[5:6], off
	s_lshl_b64 s[12:13], s[2:3], 1
	v_mov_b32_e32 v9, s13
	s_lshl_b64 s[16:17], s[10:11], 1
	v_mov_b32_e32 v10, s17
	s_waitcnt vmcnt(1)
	v_add_co_u32_e32 v7, vcc, s12, v7
	v_addc_co_u32_e32 v8, vcc, v8, v9, vcc
	s_mov_b32 s12, 0x7f800000
	s_waitcnt vmcnt(0)
	v_add_co_u32_e32 v9, vcc, s16, v5
	v_addc_co_u32_e32 v10, vcc, v6, v10, vcc
	v_add_co_u32_e32 v5, vcc, v7, v2
	v_addc_co_u32_e32 v6, vcc, v8, v3, vcc
	flat_load_ushort v8, v[5:6]
	v_add_co_u32_e32 v5, vcc, v9, v0
	v_addc_co_u32_e32 v6, vcc, v10, v1, vcc
	flat_load_ushort v7, v[5:6]
	s_waitcnt vmcnt(0) lgkmcnt(0)
	v_lshlrev_b32_e32 v8, 16, v8
	v_mul_f32_e32 v8, s14, v8
	v_and_b32_e32 v9, 0x7f800000, v8
	v_cmp_ne_u32_e32 vcc, s12, v9
                                        ; implicit-def: $vgpr9
	s_and_saveexec_b64 s[12:13], vcc
	s_xor_b64 s[12:13], exec, s[12:13]
; %bb.3:
	v_bfe_u32 v9, v8, 16, 1
	s_movk_i32 s16, 0x7fff
	v_add3_u32 v9, v8, v9, s16
                                        ; implicit-def: $vgpr8
; %bb.4:
	s_andn2_saveexec_b64 s[12:13], s[12:13]
; %bb.5:
	v_mov_b32_e32 v9, 0
	v_or_b32_e32 v10, 0x10000, v8
	v_cmp_eq_u32_sdwa vcc, v8, v9 src0_sel:WORD_0 src1_sel:DWORD
	v_cndmask_b32_e32 v9, v10, v8, vcc
; %bb.6:
	s_or_b64 exec, exec, s[12:13]
	v_and_b32_e32 v8, 0xffff0000, v9
	v_lshlrev_b32_e32 v7, 16, v7
	v_add_f32_e32 v7, v7, v8
	s_mov_b32 s12, 0x7f800000
	v_and_b32_e32 v8, 0x7f800000, v7
	v_cmp_ne_u32_e32 vcc, s12, v8
                                        ; implicit-def: $vgpr8
	s_and_saveexec_b64 s[12:13], vcc
	s_xor_b64 s[12:13], exec, s[12:13]
; %bb.7:
	v_bfe_u32 v8, v7, 16, 1
	s_movk_i32 s16, 0x7fff
	v_add3_u32 v8, v7, v8, s16
                                        ; implicit-def: $vgpr7
; %bb.8:
	s_andn2_saveexec_b64 s[12:13], s[12:13]
; %bb.9:
	v_mov_b32_e32 v8, 0
	v_or_b32_e32 v9, 0x10000, v7
	v_cmp_eq_u32_sdwa vcc, v7, v8 src0_sel:WORD_0 src1_sel:DWORD
	v_cndmask_b32_e32 v8, v9, v7, vcc
; %bb.10:
	s_or_b64 exec, exec, s[12:13]
	flat_store_short_d16_hi v[5:6], v8
.LBB135_11:
	s_or_b64 exec, exec, s[6:7]
	v_or_b32_e32 v5, 1, v4
	v_cmp_gt_u32_e32 vcc, s15, v5
	s_and_b64 s[12:13], vcc, s[4:5]
	s_and_saveexec_b64 s[6:7], s[12:13]
	s_cbranch_execz .LBB135_21
; %bb.12:
	v_mov_b32_e32 v5, 0
	v_lshlrev_b64 v[5:6], 3, v[4:5]
	v_mov_b32_e32 v8, s1
	v_add_co_u32_e32 v7, vcc, s0, v5
	v_addc_co_u32_e32 v8, vcc, v8, v6, vcc
	global_load_dwordx2 v[7:8], v[7:8], off offset:8
	v_mov_b32_e32 v9, s9
	v_add_co_u32_e32 v5, vcc, s8, v5
	v_addc_co_u32_e32 v6, vcc, v9, v6, vcc
	global_load_dwordx2 v[5:6], v[5:6], off offset:8
	s_lshl_b64 s[12:13], s[2:3], 1
	v_mov_b32_e32 v9, s13
	s_lshl_b64 s[16:17], s[10:11], 1
	v_mov_b32_e32 v10, s17
	s_waitcnt vmcnt(0)
	v_add_co_u32_e32 v7, vcc, s12, v7
	v_addc_co_u32_e32 v8, vcc, v8, v9, vcc
	s_mov_b32 s12, 0x7f800000
	v_add_co_u32_e32 v9, vcc, s16, v5
	v_addc_co_u32_e32 v10, vcc, v6, v10, vcc
	v_add_co_u32_e32 v5, vcc, v7, v2
	v_addc_co_u32_e32 v6, vcc, v8, v3, vcc
	flat_load_ushort v8, v[5:6]
	v_add_co_u32_e32 v5, vcc, v9, v0
	v_addc_co_u32_e32 v6, vcc, v10, v1, vcc
	flat_load_ushort v7, v[5:6]
	s_waitcnt vmcnt(0) lgkmcnt(0)
	v_lshlrev_b32_e32 v8, 16, v8
	v_mul_f32_e32 v8, s14, v8
	v_and_b32_e32 v9, 0x7f800000, v8
	v_cmp_ne_u32_e32 vcc, s12, v9
                                        ; implicit-def: $vgpr9
	s_and_saveexec_b64 s[12:13], vcc
	s_xor_b64 s[12:13], exec, s[12:13]
; %bb.13:
	v_bfe_u32 v9, v8, 16, 1
	s_movk_i32 s16, 0x7fff
	v_add3_u32 v9, v8, v9, s16
                                        ; implicit-def: $vgpr8
; %bb.14:
	s_andn2_saveexec_b64 s[12:13], s[12:13]
; %bb.15:
	v_mov_b32_e32 v9, 0
	v_or_b32_e32 v10, 0x10000, v8
	v_cmp_eq_u32_sdwa vcc, v8, v9 src0_sel:WORD_0 src1_sel:DWORD
	v_cndmask_b32_e32 v9, v10, v8, vcc
; %bb.16:
	s_or_b64 exec, exec, s[12:13]
	v_and_b32_e32 v8, 0xffff0000, v9
	v_lshlrev_b32_e32 v7, 16, v7
	v_add_f32_e32 v7, v7, v8
	s_mov_b32 s12, 0x7f800000
	v_and_b32_e32 v8, 0x7f800000, v7
	v_cmp_ne_u32_e32 vcc, s12, v8
                                        ; implicit-def: $vgpr8
	s_and_saveexec_b64 s[12:13], vcc
	s_xor_b64 s[12:13], exec, s[12:13]
; %bb.17:
	v_bfe_u32 v8, v7, 16, 1
	s_movk_i32 s16, 0x7fff
	v_add3_u32 v8, v7, v8, s16
                                        ; implicit-def: $vgpr7
; %bb.18:
	s_andn2_saveexec_b64 s[12:13], s[12:13]
; %bb.19:
	v_mov_b32_e32 v8, 0
	v_or_b32_e32 v9, 0x10000, v7
	v_cmp_eq_u32_sdwa vcc, v7, v8 src0_sel:WORD_0 src1_sel:DWORD
	v_cndmask_b32_e32 v8, v9, v7, vcc
; %bb.20:
	s_or_b64 exec, exec, s[12:13]
	flat_store_short_d16_hi v[5:6], v8
.LBB135_21:
	s_or_b64 exec, exec, s[6:7]
	v_or_b32_e32 v5, 2, v4
	v_cmp_gt_u32_e32 vcc, s15, v5
	s_and_b64 s[12:13], vcc, s[4:5]
	s_and_saveexec_b64 s[6:7], s[12:13]
	s_cbranch_execz .LBB135_31
; %bb.22:
	v_mov_b32_e32 v5, 0
	v_lshlrev_b64 v[5:6], 3, v[4:5]
	v_mov_b32_e32 v8, s1
	v_add_co_u32_e32 v7, vcc, s0, v5
	v_addc_co_u32_e32 v8, vcc, v8, v6, vcc
	global_load_dwordx2 v[7:8], v[7:8], off offset:16
	v_mov_b32_e32 v9, s9
	v_add_co_u32_e32 v5, vcc, s8, v5
	v_addc_co_u32_e32 v6, vcc, v9, v6, vcc
	global_load_dwordx2 v[5:6], v[5:6], off offset:16
	s_lshl_b64 s[12:13], s[2:3], 1
	v_mov_b32_e32 v9, s13
	s_lshl_b64 s[16:17], s[10:11], 1
	v_mov_b32_e32 v10, s17
	s_waitcnt vmcnt(0)
	v_add_co_u32_e32 v7, vcc, s12, v7
	v_addc_co_u32_e32 v8, vcc, v8, v9, vcc
	s_mov_b32 s12, 0x7f800000
	v_add_co_u32_e32 v9, vcc, s16, v5
	v_addc_co_u32_e32 v10, vcc, v6, v10, vcc
	v_add_co_u32_e32 v5, vcc, v7, v2
	v_addc_co_u32_e32 v6, vcc, v8, v3, vcc
	flat_load_ushort v8, v[5:6]
	v_add_co_u32_e32 v5, vcc, v9, v0
	v_addc_co_u32_e32 v6, vcc, v10, v1, vcc
	flat_load_ushort v7, v[5:6]
	s_waitcnt vmcnt(0) lgkmcnt(0)
	v_lshlrev_b32_e32 v8, 16, v8
	v_mul_f32_e32 v8, s14, v8
	v_and_b32_e32 v9, 0x7f800000, v8
	v_cmp_ne_u32_e32 vcc, s12, v9
                                        ; implicit-def: $vgpr9
	s_and_saveexec_b64 s[12:13], vcc
	s_xor_b64 s[12:13], exec, s[12:13]
; %bb.23:
	v_bfe_u32 v9, v8, 16, 1
	s_movk_i32 s16, 0x7fff
	v_add3_u32 v9, v8, v9, s16
                                        ; implicit-def: $vgpr8
; %bb.24:
	s_andn2_saveexec_b64 s[12:13], s[12:13]
; %bb.25:
	v_mov_b32_e32 v9, 0
	v_or_b32_e32 v10, 0x10000, v8
	v_cmp_eq_u32_sdwa vcc, v8, v9 src0_sel:WORD_0 src1_sel:DWORD
	v_cndmask_b32_e32 v9, v10, v8, vcc
; %bb.26:
	s_or_b64 exec, exec, s[12:13]
	v_and_b32_e32 v8, 0xffff0000, v9
	v_lshlrev_b32_e32 v7, 16, v7
	v_add_f32_e32 v7, v7, v8
	s_mov_b32 s12, 0x7f800000
	v_and_b32_e32 v8, 0x7f800000, v7
	v_cmp_ne_u32_e32 vcc, s12, v8
                                        ; implicit-def: $vgpr8
	s_and_saveexec_b64 s[12:13], vcc
	s_xor_b64 s[12:13], exec, s[12:13]
; %bb.27:
	v_bfe_u32 v8, v7, 16, 1
	s_movk_i32 s16, 0x7fff
	v_add3_u32 v8, v7, v8, s16
                                        ; implicit-def: $vgpr7
; %bb.28:
	s_andn2_saveexec_b64 s[12:13], s[12:13]
; %bb.29:
	v_mov_b32_e32 v8, 0
	v_or_b32_e32 v9, 0x10000, v7
	v_cmp_eq_u32_sdwa vcc, v7, v8 src0_sel:WORD_0 src1_sel:DWORD
	v_cndmask_b32_e32 v8, v9, v7, vcc
; %bb.30:
	s_or_b64 exec, exec, s[12:13]
	flat_store_short_d16_hi v[5:6], v8
.LBB135_31:
	s_or_b64 exec, exec, s[6:7]
	v_or_b32_e32 v5, 3, v4
	v_cmp_gt_u32_e32 vcc, s15, v5
	s_and_b64 s[4:5], vcc, s[4:5]
	s_and_b64 exec, exec, s[4:5]
	s_cbranch_execz .LBB135_41
; %bb.32:
	v_mov_b32_e32 v5, 0
	v_lshlrev_b64 v[4:5], 3, v[4:5]
	v_mov_b32_e32 v7, s1
	v_add_co_u32_e32 v6, vcc, s0, v4
	v_addc_co_u32_e32 v7, vcc, v7, v5, vcc
	global_load_dwordx2 v[6:7], v[6:7], off offset:24
	v_mov_b32_e32 v8, s9
	v_add_co_u32_e32 v4, vcc, s8, v4
	v_addc_co_u32_e32 v5, vcc, v8, v5, vcc
	global_load_dwordx2 v[4:5], v[4:5], off offset:24
	s_lshl_b64 s[0:1], s[2:3], 1
	v_mov_b32_e32 v8, s1
	s_lshl_b64 s[2:3], s[10:11], 1
	v_mov_b32_e32 v9, s3
	s_waitcnt vmcnt(0)
	v_add_co_u32_e32 v6, vcc, s0, v6
	v_addc_co_u32_e32 v7, vcc, v7, v8, vcc
	s_mov_b32 s0, 0x7f800000
	v_add_co_u32_e32 v4, vcc, s2, v4
	v_addc_co_u32_e32 v5, vcc, v5, v9, vcc
	v_add_co_u32_e32 v2, vcc, v6, v2
	v_addc_co_u32_e32 v3, vcc, v7, v3, vcc
	flat_load_ushort v3, v[2:3]
	v_add_co_u32_e32 v0, vcc, v4, v0
	v_addc_co_u32_e32 v1, vcc, v5, v1, vcc
	flat_load_ushort v2, v[0:1]
	s_waitcnt vmcnt(0) lgkmcnt(0)
	v_lshlrev_b32_e32 v3, 16, v3
	v_mul_f32_e32 v3, s14, v3
	v_and_b32_e32 v4, 0x7f800000, v3
	v_cmp_ne_u32_e32 vcc, s0, v4
                                        ; implicit-def: $vgpr4
	s_and_saveexec_b64 s[0:1], vcc
	s_xor_b64 s[0:1], exec, s[0:1]
; %bb.33:
	v_bfe_u32 v4, v3, 16, 1
	s_movk_i32 s2, 0x7fff
	v_add3_u32 v4, v3, v4, s2
                                        ; implicit-def: $vgpr3
; %bb.34:
	s_andn2_saveexec_b64 s[0:1], s[0:1]
; %bb.35:
	v_mov_b32_e32 v4, 0
	v_or_b32_e32 v5, 0x10000, v3
	v_cmp_eq_u32_sdwa vcc, v3, v4 src0_sel:WORD_0 src1_sel:DWORD
	v_cndmask_b32_e32 v4, v5, v3, vcc
; %bb.36:
	s_or_b64 exec, exec, s[0:1]
	v_and_b32_e32 v3, 0xffff0000, v4
	v_lshlrev_b32_e32 v2, 16, v2
	v_add_f32_e32 v2, v2, v3
	s_mov_b32 s0, 0x7f800000
	v_and_b32_e32 v3, 0x7f800000, v2
	v_cmp_ne_u32_e32 vcc, s0, v3
                                        ; implicit-def: $vgpr3
	s_and_saveexec_b64 s[0:1], vcc
	s_xor_b64 s[0:1], exec, s[0:1]
; %bb.37:
	v_bfe_u32 v3, v2, 16, 1
	s_movk_i32 s2, 0x7fff
	v_add3_u32 v3, v2, v3, s2
                                        ; implicit-def: $vgpr2
; %bb.38:
	s_andn2_saveexec_b64 s[0:1], s[0:1]
; %bb.39:
	v_mov_b32_e32 v3, 0
	v_or_b32_e32 v4, 0x10000, v2
	v_cmp_eq_u32_sdwa vcc, v2, v3 src0_sel:WORD_0 src1_sel:DWORD
	v_cndmask_b32_e32 v3, v4, v2, vcc
; %bb.40:
	s_or_b64 exec, exec, s[0:1]
	flat_store_short_d16_hi v[0:1], v3
.LBB135_41:
	s_endpgm
	.section	.rodata,"a",@progbits
	.p2align	6, 0x0
	.amdhsa_kernel _ZL27rocblas_axpy_kernel_batchedIiLi128ELi8Ef16rocblas_bfloat16PKPKS0_PKPS0_EviT3_lT4_lT_lT5_lSA_li
		.amdhsa_group_segment_fixed_size 0
		.amdhsa_private_segment_fixed_size 0
		.amdhsa_kernarg_size 84
		.amdhsa_user_sgpr_count 6
		.amdhsa_user_sgpr_private_segment_buffer 1
		.amdhsa_user_sgpr_dispatch_ptr 0
		.amdhsa_user_sgpr_queue_ptr 0
		.amdhsa_user_sgpr_kernarg_segment_ptr 1
		.amdhsa_user_sgpr_dispatch_id 0
		.amdhsa_user_sgpr_flat_scratch_init 0
		.amdhsa_user_sgpr_private_segment_size 0
		.amdhsa_uses_dynamic_stack 0
		.amdhsa_system_sgpr_private_segment_wavefront_offset 0
		.amdhsa_system_sgpr_workgroup_id_x 1
		.amdhsa_system_sgpr_workgroup_id_y 0
		.amdhsa_system_sgpr_workgroup_id_z 1
		.amdhsa_system_sgpr_workgroup_info 0
		.amdhsa_system_vgpr_workitem_id 1
		.amdhsa_next_free_vgpr 11
		.amdhsa_next_free_sgpr 18
		.amdhsa_reserve_vcc 1
		.amdhsa_reserve_flat_scratch 0
		.amdhsa_float_round_mode_32 0
		.amdhsa_float_round_mode_16_64 0
		.amdhsa_float_denorm_mode_32 3
		.amdhsa_float_denorm_mode_16_64 3
		.amdhsa_dx10_clamp 1
		.amdhsa_ieee_mode 1
		.amdhsa_fp16_overflow 0
		.amdhsa_exception_fp_ieee_invalid_op 0
		.amdhsa_exception_fp_denorm_src 0
		.amdhsa_exception_fp_ieee_div_zero 0
		.amdhsa_exception_fp_ieee_overflow 0
		.amdhsa_exception_fp_ieee_underflow 0
		.amdhsa_exception_fp_ieee_inexact 0
		.amdhsa_exception_int_div_zero 0
	.end_amdhsa_kernel
	.section	.text._ZL27rocblas_axpy_kernel_batchedIiLi128ELi8Ef16rocblas_bfloat16PKPKS0_PKPS0_EviT3_lT4_lT_lT5_lSA_li,"axG",@progbits,_ZL27rocblas_axpy_kernel_batchedIiLi128ELi8Ef16rocblas_bfloat16PKPKS0_PKPS0_EviT3_lT4_lT_lT5_lSA_li,comdat
.Lfunc_end135:
	.size	_ZL27rocblas_axpy_kernel_batchedIiLi128ELi8Ef16rocblas_bfloat16PKPKS0_PKPS0_EviT3_lT4_lT_lT5_lSA_li, .Lfunc_end135-_ZL27rocblas_axpy_kernel_batchedIiLi128ELi8Ef16rocblas_bfloat16PKPKS0_PKPS0_EviT3_lT4_lT_lT5_lSA_li
                                        ; -- End function
	.set _ZL27rocblas_axpy_kernel_batchedIiLi128ELi8Ef16rocblas_bfloat16PKPKS0_PKPS0_EviT3_lT4_lT_lT5_lSA_li.num_vgpr, 11
	.set _ZL27rocblas_axpy_kernel_batchedIiLi128ELi8Ef16rocblas_bfloat16PKPKS0_PKPS0_EviT3_lT4_lT_lT5_lSA_li.num_agpr, 0
	.set _ZL27rocblas_axpy_kernel_batchedIiLi128ELi8Ef16rocblas_bfloat16PKPKS0_PKPS0_EviT3_lT4_lT_lT5_lSA_li.numbered_sgpr, 18
	.set _ZL27rocblas_axpy_kernel_batchedIiLi128ELi8Ef16rocblas_bfloat16PKPKS0_PKPS0_EviT3_lT4_lT_lT5_lSA_li.num_named_barrier, 0
	.set _ZL27rocblas_axpy_kernel_batchedIiLi128ELi8Ef16rocblas_bfloat16PKPKS0_PKPS0_EviT3_lT4_lT_lT5_lSA_li.private_seg_size, 0
	.set _ZL27rocblas_axpy_kernel_batchedIiLi128ELi8Ef16rocblas_bfloat16PKPKS0_PKPS0_EviT3_lT4_lT_lT5_lSA_li.uses_vcc, 1
	.set _ZL27rocblas_axpy_kernel_batchedIiLi128ELi8Ef16rocblas_bfloat16PKPKS0_PKPS0_EviT3_lT4_lT_lT5_lSA_li.uses_flat_scratch, 0
	.set _ZL27rocblas_axpy_kernel_batchedIiLi128ELi8Ef16rocblas_bfloat16PKPKS0_PKPS0_EviT3_lT4_lT_lT5_lSA_li.has_dyn_sized_stack, 0
	.set _ZL27rocblas_axpy_kernel_batchedIiLi128ELi8Ef16rocblas_bfloat16PKPKS0_PKPS0_EviT3_lT4_lT_lT5_lSA_li.has_recursion, 0
	.set _ZL27rocblas_axpy_kernel_batchedIiLi128ELi8Ef16rocblas_bfloat16PKPKS0_PKPS0_EviT3_lT4_lT_lT5_lSA_li.has_indirect_call, 0
	.section	.AMDGPU.csdata,"",@progbits
; Kernel info:
; codeLenInByte = 1548
; TotalNumSgprs: 22
; NumVgprs: 11
; ScratchSize: 0
; MemoryBound: 0
; FloatMode: 240
; IeeeMode: 1
; LDSByteSize: 0 bytes/workgroup (compile time only)
; SGPRBlocks: 2
; VGPRBlocks: 2
; NumSGPRsForWavesPerEU: 22
; NumVGPRsForWavesPerEU: 11
; Occupancy: 10
; WaveLimiterHint : 1
; COMPUTE_PGM_RSRC2:SCRATCH_EN: 0
; COMPUTE_PGM_RSRC2:USER_SGPR: 6
; COMPUTE_PGM_RSRC2:TRAP_HANDLER: 0
; COMPUTE_PGM_RSRC2:TGID_X_EN: 1
; COMPUTE_PGM_RSRC2:TGID_Y_EN: 0
; COMPUTE_PGM_RSRC2:TGID_Z_EN: 1
; COMPUTE_PGM_RSRC2:TIDIG_COMP_CNT: 1
	.section	.text._ZL19rocblas_axpy_kernelIiLi256EfPK16rocblas_bfloat16PKS2_PKPS0_EviT2_lT3_lT_lT4_lSA_li,"axG",@progbits,_ZL19rocblas_axpy_kernelIiLi256EfPK16rocblas_bfloat16PKS2_PKPS0_EviT2_lT3_lT_lT4_lSA_li,comdat
	.globl	_ZL19rocblas_axpy_kernelIiLi256EfPK16rocblas_bfloat16PKS2_PKPS0_EviT2_lT3_lT_lT4_lSA_li ; -- Begin function _ZL19rocblas_axpy_kernelIiLi256EfPK16rocblas_bfloat16PKS2_PKPS0_EviT2_lT3_lT_lT4_lSA_li
	.p2align	8
	.type	_ZL19rocblas_axpy_kernelIiLi256EfPK16rocblas_bfloat16PKS2_PKPS0_EviT2_lT3_lT_lT4_lSA_li,@function
_ZL19rocblas_axpy_kernelIiLi256EfPK16rocblas_bfloat16PKS2_PKPS0_EviT2_lT3_lT_lT4_lSA_li: ; @_ZL19rocblas_axpy_kernelIiLi256EfPK16rocblas_bfloat16PKS2_PKPS0_EviT2_lT3_lT_lT4_lSA_li
; %bb.0:
	s_load_dword s2, s[4:5], 0x0
	s_load_dwordx4 s[8:11], s[4:5], 0x8
	s_mov_b32 s0, s7
	v_mov_b32_e32 v1, 0
	v_lshl_or_b32 v0, s6, 8, v0
	s_waitcnt lgkmcnt(0)
	s_ashr_i32 s3, s2, 31
	s_mul_i32 s1, s11, s7
	s_mul_hi_u32 s7, s10, s7
	s_add_i32 s11, s7, s1
	s_mul_i32 s10, s10, s0
	s_lshl_b64 s[10:11], s[10:11], 1
	s_add_u32 s8, s8, s10
	s_addc_u32 s9, s9, s11
	global_load_ushort v2, v1, s[8:9]
	v_cmp_gt_i64_e32 vcc, s[2:3], v[0:1]
	s_mov_b32 s1, 0
	s_waitcnt vmcnt(0)
	v_readfirstlane_b32 s6, v2
	s_and_b32 s6, s6, 0x7fff
	s_cmp_lg_u32 s6, 0
	s_cselect_b64 s[2:3], -1, 0
	s_and_b64 s[2:3], vcc, s[2:3]
	s_and_saveexec_b64 s[6:7], s[2:3]
	s_cbranch_execz .LBB136_10
; %bb.1:
	s_load_dword s12, s[4:5], 0x28
	s_load_dwordx4 s[8:11], s[4:5], 0x18
	s_load_dword s14, s[4:5], 0x48
	s_lshl_b64 s[6:7], s[0:1], 3
	s_waitcnt lgkmcnt(0)
	v_mad_u64_u32 v[3:4], s[2:3], s12, v0, 0
	s_ashr_i32 s0, s12, 31
	s_ashr_i32 s15, s14, 31
	v_mov_b32_e32 v1, v4
	s_add_u32 s8, s8, s6
	v_mad_u64_u32 v[4:5], s[0:1], s0, v0, v[1:2]
	s_addc_u32 s9, s9, s7
	s_load_dwordx2 s[12:13], s[8:9], 0x0
	s_load_dwordx4 s[0:3], s[4:5], 0x38
	s_lshl_b64 s[4:5], s[10:11], 1
	v_mad_u64_u32 v[5:6], s[8:9], s14, v0, 0
	s_waitcnt lgkmcnt(0)
	s_add_u32 s10, s12, s4
	s_addc_u32 s4, s13, s5
	s_add_u32 s0, s0, s6
	v_mov_b32_e32 v1, v6
	s_addc_u32 s1, s1, s7
	v_mov_b32_e32 v7, s4
	v_mad_u64_u32 v[0:1], s[4:5], s15, v0, v[1:2]
	s_load_dwordx2 s[0:1], s[0:1], 0x0
	v_lshlrev_b64 v[3:4], 1, v[3:4]
	v_mov_b32_e32 v6, v0
	v_add_co_u32_e32 v3, vcc, s10, v3
	v_addc_co_u32_e32 v4, vcc, v7, v4, vcc
	s_lshl_b64 s[2:3], s[2:3], 1
	s_waitcnt lgkmcnt(0)
	s_add_u32 s0, s0, s2
	v_lshlrev_b64 v[0:1], 1, v[5:6]
	flat_load_ushort v4, v[3:4]
	s_addc_u32 s1, s1, s3
	v_mov_b32_e32 v5, s1
	v_add_co_u32_e32 v0, vcc, s0, v0
	v_addc_co_u32_e32 v1, vcc, v5, v1, vcc
	flat_load_ushort v3, v[0:1]
	v_lshlrev_b32_e32 v2, 16, v2
	s_mov_b32 s0, 0x7f800000
	s_waitcnt vmcnt(0) lgkmcnt(0)
	v_lshlrev_b32_e32 v4, 16, v4
	v_mul_f32_e32 v2, v2, v4
	v_and_b32_e32 v4, 0x7f800000, v2
	v_cmp_ne_u32_e32 vcc, s0, v4
                                        ; implicit-def: $vgpr4
	s_and_saveexec_b64 s[0:1], vcc
	s_xor_b64 s[0:1], exec, s[0:1]
; %bb.2:
	v_bfe_u32 v4, v2, 16, 1
	s_movk_i32 s2, 0x7fff
	v_add3_u32 v4, v2, v4, s2
                                        ; implicit-def: $vgpr2
; %bb.3:
	s_andn2_saveexec_b64 s[0:1], s[0:1]
; %bb.4:
	v_mov_b32_e32 v4, 0
	v_or_b32_e32 v5, 0x10000, v2
	v_cmp_eq_u32_sdwa vcc, v2, v4 src0_sel:WORD_0 src1_sel:DWORD
	v_cndmask_b32_e32 v4, v5, v2, vcc
; %bb.5:
	s_or_b64 exec, exec, s[0:1]
	v_and_b32_e32 v2, 0xffff0000, v4
	v_lshlrev_b32_e32 v3, 16, v3
	v_add_f32_e32 v2, v3, v2
	s_mov_b32 s0, 0x7f800000
	v_and_b32_e32 v3, 0x7f800000, v2
	v_cmp_ne_u32_e32 vcc, s0, v3
                                        ; implicit-def: $vgpr3
	s_and_saveexec_b64 s[0:1], vcc
	s_xor_b64 s[0:1], exec, s[0:1]
; %bb.6:
	v_bfe_u32 v3, v2, 16, 1
	s_movk_i32 s2, 0x7fff
	v_add3_u32 v3, v2, v3, s2
                                        ; implicit-def: $vgpr2
; %bb.7:
	s_andn2_saveexec_b64 s[0:1], s[0:1]
; %bb.8:
	v_mov_b32_e32 v3, 0
	v_or_b32_e32 v4, 0x10000, v2
	v_cmp_eq_u32_sdwa vcc, v2, v3 src0_sel:WORD_0 src1_sel:DWORD
	v_cndmask_b32_e32 v3, v4, v2, vcc
; %bb.9:
	s_or_b64 exec, exec, s[0:1]
	flat_store_short_d16_hi v[0:1], v3
.LBB136_10:
	s_endpgm
	.section	.rodata,"a",@progbits
	.p2align	6, 0x0
	.amdhsa_kernel _ZL19rocblas_axpy_kernelIiLi256EfPK16rocblas_bfloat16PKS2_PKPS0_EviT2_lT3_lT_lT4_lSA_li
		.amdhsa_group_segment_fixed_size 0
		.amdhsa_private_segment_fixed_size 0
		.amdhsa_kernarg_size 92
		.amdhsa_user_sgpr_count 6
		.amdhsa_user_sgpr_private_segment_buffer 1
		.amdhsa_user_sgpr_dispatch_ptr 0
		.amdhsa_user_sgpr_queue_ptr 0
		.amdhsa_user_sgpr_kernarg_segment_ptr 1
		.amdhsa_user_sgpr_dispatch_id 0
		.amdhsa_user_sgpr_flat_scratch_init 0
		.amdhsa_user_sgpr_private_segment_size 0
		.amdhsa_uses_dynamic_stack 0
		.amdhsa_system_sgpr_private_segment_wavefront_offset 0
		.amdhsa_system_sgpr_workgroup_id_x 1
		.amdhsa_system_sgpr_workgroup_id_y 0
		.amdhsa_system_sgpr_workgroup_id_z 1
		.amdhsa_system_sgpr_workgroup_info 0
		.amdhsa_system_vgpr_workitem_id 0
		.amdhsa_next_free_vgpr 8
		.amdhsa_next_free_sgpr 16
		.amdhsa_reserve_vcc 1
		.amdhsa_reserve_flat_scratch 0
		.amdhsa_float_round_mode_32 0
		.amdhsa_float_round_mode_16_64 0
		.amdhsa_float_denorm_mode_32 3
		.amdhsa_float_denorm_mode_16_64 3
		.amdhsa_dx10_clamp 1
		.amdhsa_ieee_mode 1
		.amdhsa_fp16_overflow 0
		.amdhsa_exception_fp_ieee_invalid_op 0
		.amdhsa_exception_fp_denorm_src 0
		.amdhsa_exception_fp_ieee_div_zero 0
		.amdhsa_exception_fp_ieee_overflow 0
		.amdhsa_exception_fp_ieee_underflow 0
		.amdhsa_exception_fp_ieee_inexact 0
		.amdhsa_exception_int_div_zero 0
	.end_amdhsa_kernel
	.section	.text._ZL19rocblas_axpy_kernelIiLi256EfPK16rocblas_bfloat16PKS2_PKPS0_EviT2_lT3_lT_lT4_lSA_li,"axG",@progbits,_ZL19rocblas_axpy_kernelIiLi256EfPK16rocblas_bfloat16PKS2_PKPS0_EviT2_lT3_lT_lT4_lSA_li,comdat
.Lfunc_end136:
	.size	_ZL19rocblas_axpy_kernelIiLi256EfPK16rocblas_bfloat16PKS2_PKPS0_EviT2_lT3_lT_lT4_lSA_li, .Lfunc_end136-_ZL19rocblas_axpy_kernelIiLi256EfPK16rocblas_bfloat16PKS2_PKPS0_EviT2_lT3_lT_lT4_lSA_li
                                        ; -- End function
	.set _ZL19rocblas_axpy_kernelIiLi256EfPK16rocblas_bfloat16PKS2_PKPS0_EviT2_lT3_lT_lT4_lSA_li.num_vgpr, 8
	.set _ZL19rocblas_axpy_kernelIiLi256EfPK16rocblas_bfloat16PKS2_PKPS0_EviT2_lT3_lT_lT4_lSA_li.num_agpr, 0
	.set _ZL19rocblas_axpy_kernelIiLi256EfPK16rocblas_bfloat16PKS2_PKPS0_EviT2_lT3_lT_lT4_lSA_li.numbered_sgpr, 16
	.set _ZL19rocblas_axpy_kernelIiLi256EfPK16rocblas_bfloat16PKS2_PKPS0_EviT2_lT3_lT_lT4_lSA_li.num_named_barrier, 0
	.set _ZL19rocblas_axpy_kernelIiLi256EfPK16rocblas_bfloat16PKS2_PKPS0_EviT2_lT3_lT_lT4_lSA_li.private_seg_size, 0
	.set _ZL19rocblas_axpy_kernelIiLi256EfPK16rocblas_bfloat16PKS2_PKPS0_EviT2_lT3_lT_lT4_lSA_li.uses_vcc, 1
	.set _ZL19rocblas_axpy_kernelIiLi256EfPK16rocblas_bfloat16PKS2_PKPS0_EviT2_lT3_lT_lT4_lSA_li.uses_flat_scratch, 0
	.set _ZL19rocblas_axpy_kernelIiLi256EfPK16rocblas_bfloat16PKS2_PKPS0_EviT2_lT3_lT_lT4_lSA_li.has_dyn_sized_stack, 0
	.set _ZL19rocblas_axpy_kernelIiLi256EfPK16rocblas_bfloat16PKS2_PKPS0_EviT2_lT3_lT_lT4_lSA_li.has_recursion, 0
	.set _ZL19rocblas_axpy_kernelIiLi256EfPK16rocblas_bfloat16PKS2_PKPS0_EviT2_lT3_lT_lT4_lSA_li.has_indirect_call, 0
	.section	.AMDGPU.csdata,"",@progbits
; Kernel info:
; codeLenInByte = 536
; TotalNumSgprs: 20
; NumVgprs: 8
; ScratchSize: 0
; MemoryBound: 0
; FloatMode: 240
; IeeeMode: 1
; LDSByteSize: 0 bytes/workgroup (compile time only)
; SGPRBlocks: 2
; VGPRBlocks: 1
; NumSGPRsForWavesPerEU: 20
; NumVGPRsForWavesPerEU: 8
; Occupancy: 10
; WaveLimiterHint : 1
; COMPUTE_PGM_RSRC2:SCRATCH_EN: 0
; COMPUTE_PGM_RSRC2:USER_SGPR: 6
; COMPUTE_PGM_RSRC2:TRAP_HANDLER: 0
; COMPUTE_PGM_RSRC2:TGID_X_EN: 1
; COMPUTE_PGM_RSRC2:TGID_Y_EN: 0
; COMPUTE_PGM_RSRC2:TGID_Z_EN: 1
; COMPUTE_PGM_RSRC2:TIDIG_COMP_CNT: 0
	.section	.text._ZL19rocblas_axpy_kernelIiLi256Ef16rocblas_bfloat16PKPKS0_PKPS0_EviT2_lT3_lT_lT4_lSA_li,"axG",@progbits,_ZL19rocblas_axpy_kernelIiLi256Ef16rocblas_bfloat16PKPKS0_PKPS0_EviT2_lT3_lT_lT4_lSA_li,comdat
	.globl	_ZL19rocblas_axpy_kernelIiLi256Ef16rocblas_bfloat16PKPKS0_PKPS0_EviT2_lT3_lT_lT4_lSA_li ; -- Begin function _ZL19rocblas_axpy_kernelIiLi256Ef16rocblas_bfloat16PKPKS0_PKPS0_EviT2_lT3_lT_lT4_lSA_li
	.p2align	8
	.type	_ZL19rocblas_axpy_kernelIiLi256Ef16rocblas_bfloat16PKPKS0_PKPS0_EviT2_lT3_lT_lT4_lSA_li,@function
_ZL19rocblas_axpy_kernelIiLi256Ef16rocblas_bfloat16PKPKS0_PKPS0_EviT2_lT3_lT_lT4_lSA_li: ; @_ZL19rocblas_axpy_kernelIiLi256Ef16rocblas_bfloat16PKPKS0_PKPS0_EviT2_lT3_lT_lT4_lSA_li
; %bb.0:
	s_load_dwordx2 s[0:1], s[4:5], 0x0
	s_mov_b32 s2, s7
	v_lshl_or_b32 v0, s6, 8, v0
	v_mov_b32_e32 v1, 0
	s_waitcnt lgkmcnt(0)
	s_and_b32 s3, s1, 0x7fff
	s_cmp_lg_u32 s3, 0
	s_cselect_b64 s[6:7], -1, 0
	s_ashr_i32 s9, s0, 31
	s_mov_b32 s8, s0
	v_cmp_gt_i64_e32 vcc, s[8:9], v[0:1]
	s_mov_b32 s3, 0
	s_and_b64 s[6:7], vcc, s[6:7]
	s_and_saveexec_b64 s[8:9], s[6:7]
	s_cbranch_execz .LBB137_10
; %bb.1:
	s_load_dword s0, s[4:5], 0x20
	s_load_dwordx4 s[8:11], s[4:5], 0x10
	s_load_dword s16, s[4:5], 0x40
	s_lshl_b64 s[2:3], s[2:3], 3
	s_waitcnt lgkmcnt(0)
	v_mad_u64_u32 v[1:2], s[6:7], s0, v0, 0
	s_ashr_i32 s0, s0, 31
	s_ashr_i32 s17, s16, 31
	v_mad_u64_u32 v[2:3], s[6:7], s0, v0, v[2:3]
	s_add_u32 s6, s8, s2
	s_addc_u32 s7, s9, s3
	s_load_dwordx2 s[8:9], s[6:7], 0x0
	s_load_dwordx4 s[12:15], s[4:5], 0x30
	s_lshl_b64 s[4:5], s[10:11], 1
	v_mad_u64_u32 v[3:4], s[6:7], s16, v0, 0
	s_waitcnt lgkmcnt(0)
	s_add_u32 s0, s8, s4
	s_addc_u32 s4, s9, s5
	s_add_u32 s2, s12, s2
	s_addc_u32 s3, s13, s3
	s_load_dwordx2 s[2:3], s[2:3], 0x0
	v_lshlrev_b64 v[1:2], 1, v[1:2]
	v_mov_b32_e32 v6, s4
	v_mad_u64_u32 v[4:5], s[4:5], s17, v0, v[4:5]
	v_add_co_u32_e32 v0, vcc, s0, v1
	v_addc_co_u32_e32 v1, vcc, v6, v2, vcc
	s_lshl_b64 s[4:5], s[14:15], 1
	s_waitcnt lgkmcnt(0)
	s_add_u32 s0, s2, s4
	v_lshlrev_b64 v[2:3], 1, v[3:4]
	flat_load_ushort v5, v[0:1]
	s_addc_u32 s2, s3, s5
	v_mov_b32_e32 v4, s2
	v_add_co_u32_e32 v0, vcc, s0, v2
	v_addc_co_u32_e32 v1, vcc, v4, v3, vcc
	flat_load_ushort v2, v[0:1]
	s_lshl_b32 s0, s1, 16
	s_waitcnt vmcnt(0) lgkmcnt(0)
	v_lshlrev_b32_e32 v3, 16, v5
	v_mul_f32_e32 v3, s0, v3
	s_mov_b32 s0, 0x7f800000
	v_and_b32_e32 v4, 0x7f800000, v3
	v_cmp_ne_u32_e32 vcc, s0, v4
                                        ; implicit-def: $vgpr4
	s_and_saveexec_b64 s[0:1], vcc
	s_xor_b64 s[0:1], exec, s[0:1]
; %bb.2:
	v_bfe_u32 v4, v3, 16, 1
	s_movk_i32 s2, 0x7fff
	v_add3_u32 v4, v3, v4, s2
                                        ; implicit-def: $vgpr3
; %bb.3:
	s_andn2_saveexec_b64 s[0:1], s[0:1]
; %bb.4:
	v_mov_b32_e32 v4, 0
	v_or_b32_e32 v5, 0x10000, v3
	v_cmp_eq_u32_sdwa vcc, v3, v4 src0_sel:WORD_0 src1_sel:DWORD
	v_cndmask_b32_e32 v4, v5, v3, vcc
; %bb.5:
	s_or_b64 exec, exec, s[0:1]
	v_and_b32_e32 v3, 0xffff0000, v4
	v_lshlrev_b32_e32 v2, 16, v2
	v_add_f32_e32 v2, v2, v3
	s_mov_b32 s0, 0x7f800000
	v_and_b32_e32 v3, 0x7f800000, v2
	v_cmp_ne_u32_e32 vcc, s0, v3
                                        ; implicit-def: $vgpr3
	s_and_saveexec_b64 s[0:1], vcc
	s_xor_b64 s[0:1], exec, s[0:1]
; %bb.6:
	v_bfe_u32 v3, v2, 16, 1
	s_movk_i32 s2, 0x7fff
	v_add3_u32 v3, v2, v3, s2
                                        ; implicit-def: $vgpr2
; %bb.7:
	s_andn2_saveexec_b64 s[0:1], s[0:1]
; %bb.8:
	v_mov_b32_e32 v3, 0
	v_or_b32_e32 v4, 0x10000, v2
	v_cmp_eq_u32_sdwa vcc, v2, v3 src0_sel:WORD_0 src1_sel:DWORD
	v_cndmask_b32_e32 v3, v4, v2, vcc
; %bb.9:
	s_or_b64 exec, exec, s[0:1]
	flat_store_short_d16_hi v[0:1], v3
.LBB137_10:
	s_endpgm
	.section	.rodata,"a",@progbits
	.p2align	6, 0x0
	.amdhsa_kernel _ZL19rocblas_axpy_kernelIiLi256Ef16rocblas_bfloat16PKPKS0_PKPS0_EviT2_lT3_lT_lT4_lSA_li
		.amdhsa_group_segment_fixed_size 0
		.amdhsa_private_segment_fixed_size 0
		.amdhsa_kernarg_size 84
		.amdhsa_user_sgpr_count 6
		.amdhsa_user_sgpr_private_segment_buffer 1
		.amdhsa_user_sgpr_dispatch_ptr 0
		.amdhsa_user_sgpr_queue_ptr 0
		.amdhsa_user_sgpr_kernarg_segment_ptr 1
		.amdhsa_user_sgpr_dispatch_id 0
		.amdhsa_user_sgpr_flat_scratch_init 0
		.amdhsa_user_sgpr_private_segment_size 0
		.amdhsa_uses_dynamic_stack 0
		.amdhsa_system_sgpr_private_segment_wavefront_offset 0
		.amdhsa_system_sgpr_workgroup_id_x 1
		.amdhsa_system_sgpr_workgroup_id_y 0
		.amdhsa_system_sgpr_workgroup_id_z 1
		.amdhsa_system_sgpr_workgroup_info 0
		.amdhsa_system_vgpr_workitem_id 0
		.amdhsa_next_free_vgpr 7
		.amdhsa_next_free_sgpr 18
		.amdhsa_reserve_vcc 1
		.amdhsa_reserve_flat_scratch 0
		.amdhsa_float_round_mode_32 0
		.amdhsa_float_round_mode_16_64 0
		.amdhsa_float_denorm_mode_32 3
		.amdhsa_float_denorm_mode_16_64 3
		.amdhsa_dx10_clamp 1
		.amdhsa_ieee_mode 1
		.amdhsa_fp16_overflow 0
		.amdhsa_exception_fp_ieee_invalid_op 0
		.amdhsa_exception_fp_denorm_src 0
		.amdhsa_exception_fp_ieee_div_zero 0
		.amdhsa_exception_fp_ieee_overflow 0
		.amdhsa_exception_fp_ieee_underflow 0
		.amdhsa_exception_fp_ieee_inexact 0
		.amdhsa_exception_int_div_zero 0
	.end_amdhsa_kernel
	.section	.text._ZL19rocblas_axpy_kernelIiLi256Ef16rocblas_bfloat16PKPKS0_PKPS0_EviT2_lT3_lT_lT4_lSA_li,"axG",@progbits,_ZL19rocblas_axpy_kernelIiLi256Ef16rocblas_bfloat16PKPKS0_PKPS0_EviT2_lT3_lT_lT4_lSA_li,comdat
.Lfunc_end137:
	.size	_ZL19rocblas_axpy_kernelIiLi256Ef16rocblas_bfloat16PKPKS0_PKPS0_EviT2_lT3_lT_lT4_lSA_li, .Lfunc_end137-_ZL19rocblas_axpy_kernelIiLi256Ef16rocblas_bfloat16PKPKS0_PKPS0_EviT2_lT3_lT_lT4_lSA_li
                                        ; -- End function
	.set _ZL19rocblas_axpy_kernelIiLi256Ef16rocblas_bfloat16PKPKS0_PKPS0_EviT2_lT3_lT_lT4_lSA_li.num_vgpr, 7
	.set _ZL19rocblas_axpy_kernelIiLi256Ef16rocblas_bfloat16PKPKS0_PKPS0_EviT2_lT3_lT_lT4_lSA_li.num_agpr, 0
	.set _ZL19rocblas_axpy_kernelIiLi256Ef16rocblas_bfloat16PKPKS0_PKPS0_EviT2_lT3_lT_lT4_lSA_li.numbered_sgpr, 18
	.set _ZL19rocblas_axpy_kernelIiLi256Ef16rocblas_bfloat16PKPKS0_PKPS0_EviT2_lT3_lT_lT4_lSA_li.num_named_barrier, 0
	.set _ZL19rocblas_axpy_kernelIiLi256Ef16rocblas_bfloat16PKPKS0_PKPS0_EviT2_lT3_lT_lT4_lSA_li.private_seg_size, 0
	.set _ZL19rocblas_axpy_kernelIiLi256Ef16rocblas_bfloat16PKPKS0_PKPS0_EviT2_lT3_lT_lT4_lSA_li.uses_vcc, 1
	.set _ZL19rocblas_axpy_kernelIiLi256Ef16rocblas_bfloat16PKPKS0_PKPS0_EviT2_lT3_lT_lT4_lSA_li.uses_flat_scratch, 0
	.set _ZL19rocblas_axpy_kernelIiLi256Ef16rocblas_bfloat16PKPKS0_PKPS0_EviT2_lT3_lT_lT4_lSA_li.has_dyn_sized_stack, 0
	.set _ZL19rocblas_axpy_kernelIiLi256Ef16rocblas_bfloat16PKPKS0_PKPS0_EviT2_lT3_lT_lT4_lSA_li.has_recursion, 0
	.set _ZL19rocblas_axpy_kernelIiLi256Ef16rocblas_bfloat16PKPKS0_PKPS0_EviT2_lT3_lT_lT4_lSA_li.has_indirect_call, 0
	.section	.AMDGPU.csdata,"",@progbits
; Kernel info:
; codeLenInByte = 476
; TotalNumSgprs: 22
; NumVgprs: 7
; ScratchSize: 0
; MemoryBound: 0
; FloatMode: 240
; IeeeMode: 1
; LDSByteSize: 0 bytes/workgroup (compile time only)
; SGPRBlocks: 2
; VGPRBlocks: 1
; NumSGPRsForWavesPerEU: 22
; NumVGPRsForWavesPerEU: 7
; Occupancy: 10
; WaveLimiterHint : 1
; COMPUTE_PGM_RSRC2:SCRATCH_EN: 0
; COMPUTE_PGM_RSRC2:USER_SGPR: 6
; COMPUTE_PGM_RSRC2:TRAP_HANDLER: 0
; COMPUTE_PGM_RSRC2:TGID_X_EN: 1
; COMPUTE_PGM_RSRC2:TGID_Y_EN: 0
; COMPUTE_PGM_RSRC2:TGID_Z_EN: 1
; COMPUTE_PGM_RSRC2:TIDIG_COMP_CNT: 0
	.section	.text._ZL26rocblas_haxpy_mod_8_kernelILi256EPKfPKPK16rocblas_bfloat16PKPS2_EviT0_lT1_llT2_lli,"axG",@progbits,_ZL26rocblas_haxpy_mod_8_kernelILi256EPKfPKPK16rocblas_bfloat16PKPS2_EviT0_lT1_llT2_lli,comdat
	.globl	_ZL26rocblas_haxpy_mod_8_kernelILi256EPKfPKPK16rocblas_bfloat16PKPS2_EviT0_lT1_llT2_lli ; -- Begin function _ZL26rocblas_haxpy_mod_8_kernelILi256EPKfPKPK16rocblas_bfloat16PKPS2_EviT0_lT1_llT2_lli
	.p2align	8
	.type	_ZL26rocblas_haxpy_mod_8_kernelILi256EPKfPKPK16rocblas_bfloat16PKPS2_EviT0_lT1_llT2_lli,@function
_ZL26rocblas_haxpy_mod_8_kernelILi256EPKfPKPK16rocblas_bfloat16PKPS2_EviT0_lT1_llT2_lli: ; @_ZL26rocblas_haxpy_mod_8_kernelILi256EPKfPKPK16rocblas_bfloat16PKPS2_EviT0_lT1_llT2_lli
; %bb.0:
	s_load_dword s2, s[4:5], 0x0
	s_load_dwordx8 s[8:15], s[4:5], 0x8
	s_mov_b32 s0, s7
	v_lshl_or_b32 v0, s6, 8, v0
	v_mov_b32_e32 v1, 0
	s_waitcnt lgkmcnt(0)
	s_ashr_i32 s3, s2, 31
	s_mul_i32 s1, s11, s7
	s_mul_hi_u32 s7, s10, s7
	s_add_i32 s11, s7, s1
	s_mul_i32 s10, s10, s0
	s_lshl_b64 s[10:11], s[10:11], 2
	s_add_u32 s8, s8, s10
	s_addc_u32 s9, s9, s11
	s_load_dword s7, s[8:9], 0x0
	v_cmp_gt_i64_e32 vcc, s[2:3], v[0:1]
	s_waitcnt lgkmcnt(0)
	v_cmp_neq_f32_e64 s[2:3], s7, 0
	s_and_b64 s[2:3], vcc, s[2:3]
	s_and_saveexec_b64 s[8:9], s[2:3]
	s_cbranch_execz .LBB138_10
; %bb.1:
	s_mov_b32 s1, 0
	s_lshl_b64 s[8:9], s[0:1], 3
	s_add_u32 s0, s12, s8
	s_addc_u32 s1, s13, s9
	s_load_dwordx2 s[0:1], s[0:1], 0x0
	s_lshl_b64 s[2:3], s[14:15], 1
	v_lshlrev_b64 v[0:1], 1, v[0:1]
	s_waitcnt lgkmcnt(0)
	s_add_u32 s0, s0, s2
	s_addc_u32 s1, s1, s3
	v_mov_b32_e32 v3, s1
	v_add_co_u32_e32 v2, vcc, s0, v0
	v_addc_co_u32_e32 v3, vcc, v3, v1, vcc
	flat_load_ushort v2, v[2:3]
	s_load_dwordx4 s[0:3], s[4:5], 0x30
	s_mov_b32 s4, 0x7f800000
	s_waitcnt lgkmcnt(0)
	s_add_u32 s0, s0, s8
	s_addc_u32 s1, s1, s9
	s_load_dwordx2 s[0:1], s[0:1], 0x0
	s_waitcnt vmcnt(0)
	v_lshlrev_b32_e32 v2, 16, v2
	v_mul_f32_e32 v3, s7, v2
	v_and_b32_e32 v2, 0x7f800000, v3
	v_cmp_ne_u32_e32 vcc, s4, v2
                                        ; implicit-def: $vgpr2
	s_and_saveexec_b64 s[4:5], vcc
	s_xor_b64 s[4:5], exec, s[4:5]
; %bb.2:
	v_bfe_u32 v2, v3, 16, 1
	s_movk_i32 s6, 0x7fff
	v_add3_u32 v2, v3, v2, s6
                                        ; implicit-def: $vgpr3
; %bb.3:
	s_andn2_saveexec_b64 s[4:5], s[4:5]
; %bb.4:
	v_mov_b32_e32 v2, 0
	v_or_b32_e32 v4, 0x10000, v3
	v_cmp_eq_u32_sdwa vcc, v3, v2 src0_sel:WORD_0 src1_sel:DWORD
	v_cndmask_b32_e32 v2, v4, v3, vcc
; %bb.5:
	s_or_b64 exec, exec, s[4:5]
	s_lshl_b64 s[2:3], s[2:3], 1
	s_waitcnt lgkmcnt(0)
	s_add_u32 s0, s0, s2
	s_addc_u32 s1, s1, s3
	v_mov_b32_e32 v3, s1
	v_add_co_u32_e32 v0, vcc, s0, v0
	v_addc_co_u32_e32 v1, vcc, v3, v1, vcc
	flat_load_ushort v3, v[0:1]
	v_and_b32_e32 v2, 0xffff0000, v2
	s_mov_b32 s0, 0x7f800000
	s_waitcnt vmcnt(0) lgkmcnt(0)
	v_lshlrev_b32_e32 v3, 16, v3
	v_add_f32_e32 v2, v2, v3
	v_and_b32_e32 v3, 0x7f800000, v2
	v_cmp_ne_u32_e32 vcc, s0, v3
                                        ; implicit-def: $vgpr3
	s_and_saveexec_b64 s[0:1], vcc
	s_xor_b64 s[0:1], exec, s[0:1]
; %bb.6:
	v_bfe_u32 v3, v2, 16, 1
	s_movk_i32 s2, 0x7fff
	v_add3_u32 v3, v2, v3, s2
                                        ; implicit-def: $vgpr2
; %bb.7:
	s_andn2_saveexec_b64 s[0:1], s[0:1]
; %bb.8:
	v_mov_b32_e32 v3, 0
	v_or_b32_e32 v4, 0x10000, v2
	v_cmp_eq_u32_sdwa vcc, v2, v3 src0_sel:WORD_0 src1_sel:DWORD
	v_cndmask_b32_e32 v3, v4, v2, vcc
; %bb.9:
	s_or_b64 exec, exec, s[0:1]
	flat_store_short_d16_hi v[0:1], v3
.LBB138_10:
	s_endpgm
	.section	.rodata,"a",@progbits
	.p2align	6, 0x0
	.amdhsa_kernel _ZL26rocblas_haxpy_mod_8_kernelILi256EPKfPKPK16rocblas_bfloat16PKPS2_EviT0_lT1_llT2_lli
		.amdhsa_group_segment_fixed_size 0
		.amdhsa_private_segment_fixed_size 0
		.amdhsa_kernarg_size 76
		.amdhsa_user_sgpr_count 6
		.amdhsa_user_sgpr_private_segment_buffer 1
		.amdhsa_user_sgpr_dispatch_ptr 0
		.amdhsa_user_sgpr_queue_ptr 0
		.amdhsa_user_sgpr_kernarg_segment_ptr 1
		.amdhsa_user_sgpr_dispatch_id 0
		.amdhsa_user_sgpr_flat_scratch_init 0
		.amdhsa_user_sgpr_private_segment_size 0
		.amdhsa_uses_dynamic_stack 0
		.amdhsa_system_sgpr_private_segment_wavefront_offset 0
		.amdhsa_system_sgpr_workgroup_id_x 1
		.amdhsa_system_sgpr_workgroup_id_y 0
		.amdhsa_system_sgpr_workgroup_id_z 1
		.amdhsa_system_sgpr_workgroup_info 0
		.amdhsa_system_vgpr_workitem_id 0
		.amdhsa_next_free_vgpr 5
		.amdhsa_next_free_sgpr 16
		.amdhsa_reserve_vcc 1
		.amdhsa_reserve_flat_scratch 0
		.amdhsa_float_round_mode_32 0
		.amdhsa_float_round_mode_16_64 0
		.amdhsa_float_denorm_mode_32 3
		.amdhsa_float_denorm_mode_16_64 3
		.amdhsa_dx10_clamp 1
		.amdhsa_ieee_mode 1
		.amdhsa_fp16_overflow 0
		.amdhsa_exception_fp_ieee_invalid_op 0
		.amdhsa_exception_fp_denorm_src 0
		.amdhsa_exception_fp_ieee_div_zero 0
		.amdhsa_exception_fp_ieee_overflow 0
		.amdhsa_exception_fp_ieee_underflow 0
		.amdhsa_exception_fp_ieee_inexact 0
		.amdhsa_exception_int_div_zero 0
	.end_amdhsa_kernel
	.section	.text._ZL26rocblas_haxpy_mod_8_kernelILi256EPKfPKPK16rocblas_bfloat16PKPS2_EviT0_lT1_llT2_lli,"axG",@progbits,_ZL26rocblas_haxpy_mod_8_kernelILi256EPKfPKPK16rocblas_bfloat16PKPS2_EviT0_lT1_llT2_lli,comdat
.Lfunc_end138:
	.size	_ZL26rocblas_haxpy_mod_8_kernelILi256EPKfPKPK16rocblas_bfloat16PKPS2_EviT0_lT1_llT2_lli, .Lfunc_end138-_ZL26rocblas_haxpy_mod_8_kernelILi256EPKfPKPK16rocblas_bfloat16PKPS2_EviT0_lT1_llT2_lli
                                        ; -- End function
	.set _ZL26rocblas_haxpy_mod_8_kernelILi256EPKfPKPK16rocblas_bfloat16PKPS2_EviT0_lT1_llT2_lli.num_vgpr, 5
	.set _ZL26rocblas_haxpy_mod_8_kernelILi256EPKfPKPK16rocblas_bfloat16PKPS2_EviT0_lT1_llT2_lli.num_agpr, 0
	.set _ZL26rocblas_haxpy_mod_8_kernelILi256EPKfPKPK16rocblas_bfloat16PKPS2_EviT0_lT1_llT2_lli.numbered_sgpr, 16
	.set _ZL26rocblas_haxpy_mod_8_kernelILi256EPKfPKPK16rocblas_bfloat16PKPS2_EviT0_lT1_llT2_lli.num_named_barrier, 0
	.set _ZL26rocblas_haxpy_mod_8_kernelILi256EPKfPKPK16rocblas_bfloat16PKPS2_EviT0_lT1_llT2_lli.private_seg_size, 0
	.set _ZL26rocblas_haxpy_mod_8_kernelILi256EPKfPKPK16rocblas_bfloat16PKPS2_EviT0_lT1_llT2_lli.uses_vcc, 1
	.set _ZL26rocblas_haxpy_mod_8_kernelILi256EPKfPKPK16rocblas_bfloat16PKPS2_EviT0_lT1_llT2_lli.uses_flat_scratch, 0
	.set _ZL26rocblas_haxpy_mod_8_kernelILi256EPKfPKPK16rocblas_bfloat16PKPS2_EviT0_lT1_llT2_lli.has_dyn_sized_stack, 0
	.set _ZL26rocblas_haxpy_mod_8_kernelILi256EPKfPKPK16rocblas_bfloat16PKPS2_EviT0_lT1_llT2_lli.has_recursion, 0
	.set _ZL26rocblas_haxpy_mod_8_kernelILi256EPKfPKPK16rocblas_bfloat16PKPS2_EviT0_lT1_llT2_lli.has_indirect_call, 0
	.section	.AMDGPU.csdata,"",@progbits
; Kernel info:
; codeLenInByte = 440
; TotalNumSgprs: 20
; NumVgprs: 5
; ScratchSize: 0
; MemoryBound: 0
; FloatMode: 240
; IeeeMode: 1
; LDSByteSize: 0 bytes/workgroup (compile time only)
; SGPRBlocks: 2
; VGPRBlocks: 1
; NumSGPRsForWavesPerEU: 20
; NumVGPRsForWavesPerEU: 5
; Occupancy: 10
; WaveLimiterHint : 1
; COMPUTE_PGM_RSRC2:SCRATCH_EN: 0
; COMPUTE_PGM_RSRC2:USER_SGPR: 6
; COMPUTE_PGM_RSRC2:TRAP_HANDLER: 0
; COMPUTE_PGM_RSRC2:TGID_X_EN: 1
; COMPUTE_PGM_RSRC2:TGID_Y_EN: 0
; COMPUTE_PGM_RSRC2:TGID_Z_EN: 1
; COMPUTE_PGM_RSRC2:TIDIG_COMP_CNT: 0
	.section	.text._ZL26rocblas_haxpy_mod_8_kernelILi256EfPKPK16rocblas_bfloat16PKPS0_EviT0_lT1_llT2_lli,"axG",@progbits,_ZL26rocblas_haxpy_mod_8_kernelILi256EfPKPK16rocblas_bfloat16PKPS0_EviT0_lT1_llT2_lli,comdat
	.globl	_ZL26rocblas_haxpy_mod_8_kernelILi256EfPKPK16rocblas_bfloat16PKPS0_EviT0_lT1_llT2_lli ; -- Begin function _ZL26rocblas_haxpy_mod_8_kernelILi256EfPKPK16rocblas_bfloat16PKPS0_EviT0_lT1_llT2_lli
	.p2align	8
	.type	_ZL26rocblas_haxpy_mod_8_kernelILi256EfPKPK16rocblas_bfloat16PKPS0_EviT0_lT1_llT2_lli,@function
_ZL26rocblas_haxpy_mod_8_kernelILi256EfPKPK16rocblas_bfloat16PKPS0_EviT0_lT1_llT2_lli: ; @_ZL26rocblas_haxpy_mod_8_kernelILi256EfPKPK16rocblas_bfloat16PKPS0_EviT0_lT1_llT2_lli
; %bb.0:
	s_load_dwordx2 s[8:9], s[4:5], 0x0
	v_lshl_or_b32 v0, s6, 8, v0
	v_mov_b32_e32 v1, 0
	s_mov_b32 s11, 0
	s_waitcnt lgkmcnt(0)
	s_ashr_i32 s1, s8, 31
	s_mov_b32 s0, s8
	v_cmp_gt_i64_e32 vcc, s[0:1], v[0:1]
	v_cmp_neq_f32_e64 s[0:1], s9, 0
	s_and_b64 s[0:1], s[0:1], vcc
	s_and_saveexec_b64 s[2:3], s[0:1]
	s_cbranch_execz .LBB139_10
; %bb.1:
	s_load_dwordx4 s[12:15], s[4:5], 0x10
	s_load_dwordx4 s[0:3], s[4:5], 0x28
	s_mov_b32 s10, s7
	s_lshl_b64 s[4:5], s[10:11], 3
	v_lshlrev_b64 v[0:1], 1, v[0:1]
	s_waitcnt lgkmcnt(0)
	s_add_u32 s6, s12, s4
	s_addc_u32 s7, s13, s5
	s_load_dwordx2 s[6:7], s[6:7], 0x0
	s_lshl_b64 s[10:11], s[14:15], 1
	s_waitcnt lgkmcnt(0)
	s_add_u32 s6, s6, s10
	s_addc_u32 s7, s7, s11
	v_mov_b32_e32 v3, s7
	v_add_co_u32_e32 v2, vcc, s6, v0
	v_addc_co_u32_e32 v3, vcc, v3, v1, vcc
	flat_load_ushort v2, v[2:3]
	s_add_u32 s0, s0, s4
	s_addc_u32 s1, s1, s5
	s_load_dwordx2 s[0:1], s[0:1], 0x0
	s_mov_b32 s4, 0x7f800000
	s_waitcnt vmcnt(0) lgkmcnt(0)
	v_lshlrev_b32_e32 v2, 16, v2
	v_mul_f32_e32 v3, s9, v2
	v_and_b32_e32 v2, 0x7f800000, v3
	v_cmp_ne_u32_e32 vcc, s4, v2
                                        ; implicit-def: $vgpr2
	s_and_saveexec_b64 s[4:5], vcc
	s_xor_b64 s[4:5], exec, s[4:5]
; %bb.2:
	v_bfe_u32 v2, v3, 16, 1
	s_movk_i32 s6, 0x7fff
	v_add3_u32 v2, v3, v2, s6
                                        ; implicit-def: $vgpr3
; %bb.3:
	s_andn2_saveexec_b64 s[4:5], s[4:5]
; %bb.4:
	v_mov_b32_e32 v2, 0
	v_or_b32_e32 v4, 0x10000, v3
	v_cmp_eq_u32_sdwa vcc, v3, v2 src0_sel:WORD_0 src1_sel:DWORD
	v_cndmask_b32_e32 v2, v4, v3, vcc
; %bb.5:
	s_or_b64 exec, exec, s[4:5]
	s_lshl_b64 s[2:3], s[2:3], 1
	s_add_u32 s0, s0, s2
	s_addc_u32 s1, s1, s3
	v_mov_b32_e32 v3, s1
	v_add_co_u32_e32 v0, vcc, s0, v0
	v_addc_co_u32_e32 v1, vcc, v3, v1, vcc
	flat_load_ushort v3, v[0:1]
	v_and_b32_e32 v2, 0xffff0000, v2
	s_mov_b32 s0, 0x7f800000
	s_waitcnt vmcnt(0) lgkmcnt(0)
	v_lshlrev_b32_e32 v3, 16, v3
	v_add_f32_e32 v2, v2, v3
	v_and_b32_e32 v3, 0x7f800000, v2
	v_cmp_ne_u32_e32 vcc, s0, v3
                                        ; implicit-def: $vgpr3
	s_and_saveexec_b64 s[0:1], vcc
	s_xor_b64 s[0:1], exec, s[0:1]
; %bb.6:
	v_bfe_u32 v3, v2, 16, 1
	s_movk_i32 s2, 0x7fff
	v_add3_u32 v3, v2, v3, s2
                                        ; implicit-def: $vgpr2
; %bb.7:
	s_andn2_saveexec_b64 s[0:1], s[0:1]
; %bb.8:
	v_mov_b32_e32 v3, 0
	v_or_b32_e32 v4, 0x10000, v2
	v_cmp_eq_u32_sdwa vcc, v2, v3 src0_sel:WORD_0 src1_sel:DWORD
	v_cndmask_b32_e32 v3, v4, v2, vcc
; %bb.9:
	s_or_b64 exec, exec, s[0:1]
	flat_store_short_d16_hi v[0:1], v3
.LBB139_10:
	s_endpgm
	.section	.rodata,"a",@progbits
	.p2align	6, 0x0
	.amdhsa_kernel _ZL26rocblas_haxpy_mod_8_kernelILi256EfPKPK16rocblas_bfloat16PKPS0_EviT0_lT1_llT2_lli
		.amdhsa_group_segment_fixed_size 0
		.amdhsa_private_segment_fixed_size 0
		.amdhsa_kernarg_size 68
		.amdhsa_user_sgpr_count 6
		.amdhsa_user_sgpr_private_segment_buffer 1
		.amdhsa_user_sgpr_dispatch_ptr 0
		.amdhsa_user_sgpr_queue_ptr 0
		.amdhsa_user_sgpr_kernarg_segment_ptr 1
		.amdhsa_user_sgpr_dispatch_id 0
		.amdhsa_user_sgpr_flat_scratch_init 0
		.amdhsa_user_sgpr_private_segment_size 0
		.amdhsa_uses_dynamic_stack 0
		.amdhsa_system_sgpr_private_segment_wavefront_offset 0
		.amdhsa_system_sgpr_workgroup_id_x 1
		.amdhsa_system_sgpr_workgroup_id_y 0
		.amdhsa_system_sgpr_workgroup_id_z 1
		.amdhsa_system_sgpr_workgroup_info 0
		.amdhsa_system_vgpr_workitem_id 0
		.amdhsa_next_free_vgpr 5
		.amdhsa_next_free_sgpr 16
		.amdhsa_reserve_vcc 1
		.amdhsa_reserve_flat_scratch 0
		.amdhsa_float_round_mode_32 0
		.amdhsa_float_round_mode_16_64 0
		.amdhsa_float_denorm_mode_32 3
		.amdhsa_float_denorm_mode_16_64 3
		.amdhsa_dx10_clamp 1
		.amdhsa_ieee_mode 1
		.amdhsa_fp16_overflow 0
		.amdhsa_exception_fp_ieee_invalid_op 0
		.amdhsa_exception_fp_denorm_src 0
		.amdhsa_exception_fp_ieee_div_zero 0
		.amdhsa_exception_fp_ieee_overflow 0
		.amdhsa_exception_fp_ieee_underflow 0
		.amdhsa_exception_fp_ieee_inexact 0
		.amdhsa_exception_int_div_zero 0
	.end_amdhsa_kernel
	.section	.text._ZL26rocblas_haxpy_mod_8_kernelILi256EfPKPK16rocblas_bfloat16PKPS0_EviT0_lT1_llT2_lli,"axG",@progbits,_ZL26rocblas_haxpy_mod_8_kernelILi256EfPKPK16rocblas_bfloat16PKPS0_EviT0_lT1_llT2_lli,comdat
.Lfunc_end139:
	.size	_ZL26rocblas_haxpy_mod_8_kernelILi256EfPKPK16rocblas_bfloat16PKPS0_EviT0_lT1_llT2_lli, .Lfunc_end139-_ZL26rocblas_haxpy_mod_8_kernelILi256EfPKPK16rocblas_bfloat16PKPS0_EviT0_lT1_llT2_lli
                                        ; -- End function
	.set _ZL26rocblas_haxpy_mod_8_kernelILi256EfPKPK16rocblas_bfloat16PKPS0_EviT0_lT1_llT2_lli.num_vgpr, 5
	.set _ZL26rocblas_haxpy_mod_8_kernelILi256EfPKPK16rocblas_bfloat16PKPS0_EviT0_lT1_llT2_lli.num_agpr, 0
	.set _ZL26rocblas_haxpy_mod_8_kernelILi256EfPKPK16rocblas_bfloat16PKPS0_EviT0_lT1_llT2_lli.numbered_sgpr, 16
	.set _ZL26rocblas_haxpy_mod_8_kernelILi256EfPKPK16rocblas_bfloat16PKPS0_EviT0_lT1_llT2_lli.num_named_barrier, 0
	.set _ZL26rocblas_haxpy_mod_8_kernelILi256EfPKPK16rocblas_bfloat16PKPS0_EviT0_lT1_llT2_lli.private_seg_size, 0
	.set _ZL26rocblas_haxpy_mod_8_kernelILi256EfPKPK16rocblas_bfloat16PKPS0_EviT0_lT1_llT2_lli.uses_vcc, 1
	.set _ZL26rocblas_haxpy_mod_8_kernelILi256EfPKPK16rocblas_bfloat16PKPS0_EviT0_lT1_llT2_lli.uses_flat_scratch, 0
	.set _ZL26rocblas_haxpy_mod_8_kernelILi256EfPKPK16rocblas_bfloat16PKPS0_EviT0_lT1_llT2_lli.has_dyn_sized_stack, 0
	.set _ZL26rocblas_haxpy_mod_8_kernelILi256EfPKPK16rocblas_bfloat16PKPS0_EviT0_lT1_llT2_lli.has_recursion, 0
	.set _ZL26rocblas_haxpy_mod_8_kernelILi256EfPKPK16rocblas_bfloat16PKPS0_EviT0_lT1_llT2_lli.has_indirect_call, 0
	.section	.AMDGPU.csdata,"",@progbits
; Kernel info:
; codeLenInByte = 400
; TotalNumSgprs: 20
; NumVgprs: 5
; ScratchSize: 0
; MemoryBound: 0
; FloatMode: 240
; IeeeMode: 1
; LDSByteSize: 0 bytes/workgroup (compile time only)
; SGPRBlocks: 2
; VGPRBlocks: 1
; NumSGPRsForWavesPerEU: 20
; NumVGPRsForWavesPerEU: 5
; Occupancy: 10
; WaveLimiterHint : 1
; COMPUTE_PGM_RSRC2:SCRATCH_EN: 0
; COMPUTE_PGM_RSRC2:USER_SGPR: 6
; COMPUTE_PGM_RSRC2:TRAP_HANDLER: 0
; COMPUTE_PGM_RSRC2:TGID_X_EN: 1
; COMPUTE_PGM_RSRC2:TGID_Y_EN: 0
; COMPUTE_PGM_RSRC2:TGID_Z_EN: 1
; COMPUTE_PGM_RSRC2:TIDIG_COMP_CNT: 0
	.section	.text._ZL22rocblas_saxpy_2_kernelILi256EfPKfPKPK16rocblas_bfloat16PKPS2_EviT1_lT2_llT3_lli,"axG",@progbits,_ZL22rocblas_saxpy_2_kernelILi256EfPKfPKPK16rocblas_bfloat16PKPS2_EviT1_lT2_llT3_lli,comdat
	.globl	_ZL22rocblas_saxpy_2_kernelILi256EfPKfPKPK16rocblas_bfloat16PKPS2_EviT1_lT2_llT3_lli ; -- Begin function _ZL22rocblas_saxpy_2_kernelILi256EfPKfPKPK16rocblas_bfloat16PKPS2_EviT1_lT2_llT3_lli
	.p2align	8
	.type	_ZL22rocblas_saxpy_2_kernelILi256EfPKfPKPK16rocblas_bfloat16PKPS2_EviT1_lT2_llT3_lli,@function
_ZL22rocblas_saxpy_2_kernelILi256EfPKfPKPK16rocblas_bfloat16PKPS2_EviT1_lT2_llT3_lli: ; @_ZL22rocblas_saxpy_2_kernelILi256EfPKfPKPK16rocblas_bfloat16PKPS2_EviT1_lT2_llT3_lli
; %bb.0:
	s_load_dwordx4 s[8:11], s[4:5], 0x8
	s_mov_b32 s0, s7
	s_waitcnt lgkmcnt(0)
	s_mul_i32 s1, s11, s7
	s_mul_hi_u32 s2, s10, s7
	s_add_i32 s3, s2, s1
	s_mul_i32 s2, s10, s7
	s_lshl_b64 s[2:3], s[2:3], 2
	s_add_u32 s2, s8, s2
	s_addc_u32 s3, s9, s3
	s_load_dword s7, s[2:3], 0x0
	s_waitcnt lgkmcnt(0)
	v_cmp_eq_f32_e64 s[2:3], s7, 0
	s_and_b64 vcc, exec, s[2:3]
	s_cbranch_vccnz .LBB140_29
; %bb.1:
	s_load_dwordx4 s[12:15], s[4:5], 0x18
	s_load_dword s10, s[4:5], 0x0
	s_mov_b32 s1, 0
	s_lshl_b64 s[16:17], s[0:1], 3
	v_lshlrev_b32_e32 v0, 1, v0
	s_waitcnt lgkmcnt(0)
	s_add_u32 s8, s12, s16
	s_addc_u32 s9, s13, s17
	s_load_dwordx2 s[12:13], s[8:9], 0x0
	s_load_dwordx4 s[0:3], s[4:5], 0x30
	s_lshl_b64 s[4:5], s[14:15], 1
	v_lshl_or_b32 v2, s6, 9, v0
	v_mov_b32_e32 v3, 0
	s_waitcnt lgkmcnt(0)
	s_add_u32 s8, s12, s4
	s_addc_u32 s9, s13, s5
	s_add_u32 s0, s0, s16
	s_addc_u32 s1, s1, s17
	s_load_dwordx2 s[0:1], s[0:1], 0x0
	s_lshl_b64 s[2:3], s[2:3], 1
	v_lshlrev_b64 v[0:1], 1, v[2:3]
	s_waitcnt lgkmcnt(0)
	s_add_u32 s6, s0, s2
	s_addc_u32 s11, s1, s3
	s_add_i32 s0, s10, -1
	s_ashr_i32 s1, s0, 31
	v_cmp_gt_i64_e32 vcc, s[0:1], v[2:3]
	s_and_saveexec_b64 s[2:3], vcc
	s_cbranch_execz .LBB140_19
; %bb.2:
	v_mov_b32_e32 v4, s9
	v_add_co_u32_e32 v6, vcc, s8, v0
	v_addc_co_u32_e32 v7, vcc, v4, v1, vcc
	flat_load_ushort v9, v[6:7]
	v_mov_b32_e32 v5, s11
	v_add_co_u32_e32 v4, vcc, s6, v0
	v_addc_co_u32_e32 v5, vcc, v5, v1, vcc
	flat_load_ushort v8, v[4:5]
	s_mov_b32 s4, 0x7f800000
	s_waitcnt vmcnt(0) lgkmcnt(0)
	v_lshlrev_b32_e32 v9, 16, v9
	v_mul_f32_e32 v9, s7, v9
	v_and_b32_e32 v10, 0x7f800000, v9
	v_cmp_ne_u32_e32 vcc, s4, v10
                                        ; implicit-def: $vgpr10
	s_and_saveexec_b64 s[4:5], vcc
	s_xor_b64 s[4:5], exec, s[4:5]
; %bb.3:
	v_bfe_u32 v10, v9, 16, 1
	s_movk_i32 s12, 0x7fff
	v_add3_u32 v10, v9, v10, s12
                                        ; implicit-def: $vgpr9
; %bb.4:
	s_andn2_saveexec_b64 s[4:5], s[4:5]
; %bb.5:
	v_mov_b32_e32 v10, 0
	v_or_b32_e32 v11, 0x10000, v9
	v_cmp_eq_u32_sdwa vcc, v9, v10 src0_sel:WORD_0 src1_sel:DWORD
	v_cndmask_b32_e32 v10, v11, v9, vcc
; %bb.6:
	s_or_b64 exec, exec, s[4:5]
	v_and_b32_e32 v9, 0xffff0000, v10
	v_lshlrev_b32_e32 v8, 16, v8
	v_add_f32_e32 v8, v8, v9
	s_mov_b32 s4, 0x7f800000
	v_and_b32_e32 v9, 0x7f800000, v8
	v_cmp_ne_u32_e32 vcc, s4, v9
                                        ; implicit-def: $vgpr9
	s_and_saveexec_b64 s[4:5], vcc
	s_xor_b64 s[4:5], exec, s[4:5]
; %bb.7:
	v_bfe_u32 v9, v8, 16, 1
	s_movk_i32 s12, 0x7fff
	v_add3_u32 v9, v8, v9, s12
                                        ; implicit-def: $vgpr8
; %bb.8:
	s_andn2_saveexec_b64 s[4:5], s[4:5]
; %bb.9:
	v_mov_b32_e32 v9, 0
	v_or_b32_e32 v10, 0x10000, v8
	v_cmp_eq_u32_sdwa vcc, v8, v9 src0_sel:WORD_0 src1_sel:DWORD
	v_cndmask_b32_e32 v9, v10, v8, vcc
; %bb.10:
	s_or_b64 exec, exec, s[4:5]
	flat_store_short_d16_hi v[4:5], v9
	flat_load_ushort v9, v[6:7] offset:2
	s_nop 0
	flat_load_ushort v8, v[4:5] offset:2
	s_mov_b32 s4, 0x7f800000
	s_waitcnt vmcnt(0) lgkmcnt(0)
	v_lshlrev_b32_e32 v6, 16, v9
	v_mul_f32_e32 v6, s7, v6
	v_and_b32_e32 v7, 0x7f800000, v6
	v_cmp_ne_u32_e32 vcc, s4, v7
                                        ; implicit-def: $vgpr7
	s_and_saveexec_b64 s[4:5], vcc
	s_xor_b64 s[4:5], exec, s[4:5]
; %bb.11:
	v_bfe_u32 v7, v6, 16, 1
	s_movk_i32 s12, 0x7fff
	v_add3_u32 v7, v6, v7, s12
                                        ; implicit-def: $vgpr6
; %bb.12:
	s_andn2_saveexec_b64 s[4:5], s[4:5]
; %bb.13:
	v_mov_b32_e32 v7, 0
	v_or_b32_e32 v9, 0x10000, v6
	v_cmp_eq_u32_sdwa vcc, v6, v7 src0_sel:WORD_0 src1_sel:DWORD
	v_cndmask_b32_e32 v7, v9, v6, vcc
; %bb.14:
	s_or_b64 exec, exec, s[4:5]
	v_and_b32_e32 v6, 0xffff0000, v7
	v_lshlrev_b32_e32 v7, 16, v8
	v_add_f32_e32 v6, v7, v6
	s_mov_b32 s4, 0x7f800000
	v_and_b32_e32 v7, 0x7f800000, v6
	v_cmp_ne_u32_e32 vcc, s4, v7
                                        ; implicit-def: $vgpr7
	s_and_saveexec_b64 s[4:5], vcc
	s_xor_b64 s[4:5], exec, s[4:5]
; %bb.15:
	v_bfe_u32 v7, v6, 16, 1
	s_movk_i32 s12, 0x7fff
	v_add3_u32 v7, v6, v7, s12
                                        ; implicit-def: $vgpr6
; %bb.16:
	s_andn2_saveexec_b64 s[4:5], s[4:5]
; %bb.17:
	v_mov_b32_e32 v7, 0
	v_or_b32_e32 v8, 0x10000, v6
	v_cmp_eq_u32_sdwa vcc, v6, v7 src0_sel:WORD_0 src1_sel:DWORD
	v_cndmask_b32_e32 v7, v8, v6, vcc
; %bb.18:
	s_or_b64 exec, exec, s[4:5]
	flat_store_short_d16_hi v[4:5], v7 offset:2
.LBB140_19:
	s_or_b64 exec, exec, s[2:3]
	s_bitcmp1_b32 s10, 0
	v_cmp_eq_u64_e32 vcc, s[0:1], v[2:3]
	s_cselect_b64 s[0:1], -1, 0
	s_and_b64 s[0:1], s[0:1], vcc
	s_and_saveexec_b64 s[2:3], s[0:1]
	s_cbranch_execz .LBB140_29
; %bb.20:
	v_mov_b32_e32 v3, s9
	v_add_co_u32_e32 v2, vcc, s8, v0
	v_addc_co_u32_e32 v3, vcc, v3, v1, vcc
	flat_load_ushort v3, v[2:3]
	v_mov_b32_e32 v4, s11
	v_add_co_u32_e32 v0, vcc, s6, v0
	v_addc_co_u32_e32 v1, vcc, v4, v1, vcc
	flat_load_ushort v2, v[0:1]
	s_mov_b32 s0, 0x7f800000
	s_waitcnt vmcnt(0) lgkmcnt(0)
	v_lshlrev_b32_e32 v3, 16, v3
	v_mul_f32_e32 v3, s7, v3
	v_and_b32_e32 v4, 0x7f800000, v3
	v_cmp_ne_u32_e32 vcc, s0, v4
                                        ; implicit-def: $vgpr4
	s_and_saveexec_b64 s[0:1], vcc
	s_xor_b64 s[0:1], exec, s[0:1]
; %bb.21:
	v_bfe_u32 v4, v3, 16, 1
	s_movk_i32 s2, 0x7fff
	v_add3_u32 v4, v3, v4, s2
                                        ; implicit-def: $vgpr3
; %bb.22:
	s_andn2_saveexec_b64 s[0:1], s[0:1]
; %bb.23:
	v_mov_b32_e32 v4, 0
	v_or_b32_e32 v5, 0x10000, v3
	v_cmp_eq_u32_sdwa vcc, v3, v4 src0_sel:WORD_0 src1_sel:DWORD
	v_cndmask_b32_e32 v4, v5, v3, vcc
; %bb.24:
	s_or_b64 exec, exec, s[0:1]
	v_and_b32_e32 v3, 0xffff0000, v4
	v_lshlrev_b32_e32 v2, 16, v2
	v_add_f32_e32 v2, v2, v3
	s_mov_b32 s0, 0x7f800000
	v_and_b32_e32 v3, 0x7f800000, v2
	v_cmp_ne_u32_e32 vcc, s0, v3
                                        ; implicit-def: $vgpr3
	s_and_saveexec_b64 s[0:1], vcc
	s_xor_b64 s[0:1], exec, s[0:1]
; %bb.25:
	v_bfe_u32 v3, v2, 16, 1
	s_movk_i32 s2, 0x7fff
	v_add3_u32 v3, v2, v3, s2
                                        ; implicit-def: $vgpr2
; %bb.26:
	s_andn2_saveexec_b64 s[0:1], s[0:1]
; %bb.27:
	v_mov_b32_e32 v3, 0
	v_or_b32_e32 v4, 0x10000, v2
	v_cmp_eq_u32_sdwa vcc, v2, v3 src0_sel:WORD_0 src1_sel:DWORD
	v_cndmask_b32_e32 v3, v4, v2, vcc
; %bb.28:
	s_or_b64 exec, exec, s[0:1]
	flat_store_short_d16_hi v[0:1], v3
.LBB140_29:
	s_endpgm
	.section	.rodata,"a",@progbits
	.p2align	6, 0x0
	.amdhsa_kernel _ZL22rocblas_saxpy_2_kernelILi256EfPKfPKPK16rocblas_bfloat16PKPS2_EviT1_lT2_llT3_lli
		.amdhsa_group_segment_fixed_size 0
		.amdhsa_private_segment_fixed_size 0
		.amdhsa_kernarg_size 76
		.amdhsa_user_sgpr_count 6
		.amdhsa_user_sgpr_private_segment_buffer 1
		.amdhsa_user_sgpr_dispatch_ptr 0
		.amdhsa_user_sgpr_queue_ptr 0
		.amdhsa_user_sgpr_kernarg_segment_ptr 1
		.amdhsa_user_sgpr_dispatch_id 0
		.amdhsa_user_sgpr_flat_scratch_init 0
		.amdhsa_user_sgpr_private_segment_size 0
		.amdhsa_uses_dynamic_stack 0
		.amdhsa_system_sgpr_private_segment_wavefront_offset 0
		.amdhsa_system_sgpr_workgroup_id_x 1
		.amdhsa_system_sgpr_workgroup_id_y 0
		.amdhsa_system_sgpr_workgroup_id_z 1
		.amdhsa_system_sgpr_workgroup_info 0
		.amdhsa_system_vgpr_workitem_id 0
		.amdhsa_next_free_vgpr 12
		.amdhsa_next_free_sgpr 18
		.amdhsa_reserve_vcc 1
		.amdhsa_reserve_flat_scratch 0
		.amdhsa_float_round_mode_32 0
		.amdhsa_float_round_mode_16_64 0
		.amdhsa_float_denorm_mode_32 3
		.amdhsa_float_denorm_mode_16_64 3
		.amdhsa_dx10_clamp 1
		.amdhsa_ieee_mode 1
		.amdhsa_fp16_overflow 0
		.amdhsa_exception_fp_ieee_invalid_op 0
		.amdhsa_exception_fp_denorm_src 0
		.amdhsa_exception_fp_ieee_div_zero 0
		.amdhsa_exception_fp_ieee_overflow 0
		.amdhsa_exception_fp_ieee_underflow 0
		.amdhsa_exception_fp_ieee_inexact 0
		.amdhsa_exception_int_div_zero 0
	.end_amdhsa_kernel
	.section	.text._ZL22rocblas_saxpy_2_kernelILi256EfPKfPKPK16rocblas_bfloat16PKPS2_EviT1_lT2_llT3_lli,"axG",@progbits,_ZL22rocblas_saxpy_2_kernelILi256EfPKfPKPK16rocblas_bfloat16PKPS2_EviT1_lT2_llT3_lli,comdat
.Lfunc_end140:
	.size	_ZL22rocblas_saxpy_2_kernelILi256EfPKfPKPK16rocblas_bfloat16PKPS2_EviT1_lT2_llT3_lli, .Lfunc_end140-_ZL22rocblas_saxpy_2_kernelILi256EfPKfPKPK16rocblas_bfloat16PKPS2_EviT1_lT2_llT3_lli
                                        ; -- End function
	.set _ZL22rocblas_saxpy_2_kernelILi256EfPKfPKPK16rocblas_bfloat16PKPS2_EviT1_lT2_llT3_lli.num_vgpr, 12
	.set _ZL22rocblas_saxpy_2_kernelILi256EfPKfPKPK16rocblas_bfloat16PKPS2_EviT1_lT2_llT3_lli.num_agpr, 0
	.set _ZL22rocblas_saxpy_2_kernelILi256EfPKfPKPK16rocblas_bfloat16PKPS2_EviT1_lT2_llT3_lli.numbered_sgpr, 18
	.set _ZL22rocblas_saxpy_2_kernelILi256EfPKfPKPK16rocblas_bfloat16PKPS2_EviT1_lT2_llT3_lli.num_named_barrier, 0
	.set _ZL22rocblas_saxpy_2_kernelILi256EfPKfPKPK16rocblas_bfloat16PKPS2_EviT1_lT2_llT3_lli.private_seg_size, 0
	.set _ZL22rocblas_saxpy_2_kernelILi256EfPKfPKPK16rocblas_bfloat16PKPS2_EviT1_lT2_llT3_lli.uses_vcc, 1
	.set _ZL22rocblas_saxpy_2_kernelILi256EfPKfPKPK16rocblas_bfloat16PKPS2_EviT1_lT2_llT3_lli.uses_flat_scratch, 0
	.set _ZL22rocblas_saxpy_2_kernelILi256EfPKfPKPK16rocblas_bfloat16PKPS2_EviT1_lT2_llT3_lli.has_dyn_sized_stack, 0
	.set _ZL22rocblas_saxpy_2_kernelILi256EfPKfPKPK16rocblas_bfloat16PKPS2_EviT1_lT2_llT3_lli.has_recursion, 0
	.set _ZL22rocblas_saxpy_2_kernelILi256EfPKfPKPK16rocblas_bfloat16PKPS2_EviT1_lT2_llT3_lli.has_indirect_call, 0
	.section	.AMDGPU.csdata,"",@progbits
; Kernel info:
; codeLenInByte = 936
; TotalNumSgprs: 22
; NumVgprs: 12
; ScratchSize: 0
; MemoryBound: 0
; FloatMode: 240
; IeeeMode: 1
; LDSByteSize: 0 bytes/workgroup (compile time only)
; SGPRBlocks: 2
; VGPRBlocks: 2
; NumSGPRsForWavesPerEU: 22
; NumVGPRsForWavesPerEU: 12
; Occupancy: 10
; WaveLimiterHint : 1
; COMPUTE_PGM_RSRC2:SCRATCH_EN: 0
; COMPUTE_PGM_RSRC2:USER_SGPR: 6
; COMPUTE_PGM_RSRC2:TRAP_HANDLER: 0
; COMPUTE_PGM_RSRC2:TGID_X_EN: 1
; COMPUTE_PGM_RSRC2:TGID_Y_EN: 0
; COMPUTE_PGM_RSRC2:TGID_Z_EN: 1
; COMPUTE_PGM_RSRC2:TIDIG_COMP_CNT: 0
	.section	.text._ZL22rocblas_saxpy_2_kernelILi256EffPKPK16rocblas_bfloat16PKPS0_EviT1_lT2_llT3_lli,"axG",@progbits,_ZL22rocblas_saxpy_2_kernelILi256EffPKPK16rocblas_bfloat16PKPS0_EviT1_lT2_llT3_lli,comdat
	.globl	_ZL22rocblas_saxpy_2_kernelILi256EffPKPK16rocblas_bfloat16PKPS0_EviT1_lT2_llT3_lli ; -- Begin function _ZL22rocblas_saxpy_2_kernelILi256EffPKPK16rocblas_bfloat16PKPS0_EviT1_lT2_llT3_lli
	.p2align	8
	.type	_ZL22rocblas_saxpy_2_kernelILi256EffPKPK16rocblas_bfloat16PKPS0_EviT1_lT2_llT3_lli,@function
_ZL22rocblas_saxpy_2_kernelILi256EffPKPK16rocblas_bfloat16PKPS0_EviT1_lT2_llT3_lli: ; @_ZL22rocblas_saxpy_2_kernelILi256EffPKPK16rocblas_bfloat16PKPS0_EviT1_lT2_llT3_lli
; %bb.0:
	s_load_dwordx2 s[0:1], s[4:5], 0x0
	s_mov_b32 s3, 0
	s_waitcnt lgkmcnt(0)
	v_cmp_eq_f32_e64 s[8:9], s1, 0
	s_and_b64 vcc, exec, s[8:9]
	s_cbranch_vccnz .LBB141_29
; %bb.1:
	s_load_dwordx4 s[8:11], s[4:5], 0x10
	s_load_dwordx4 s[12:15], s[4:5], 0x28
	s_mov_b32 s2, s7
	s_lshl_b64 s[2:3], s[2:3], 3
	v_lshlrev_b32_e32 v0, 1, v0
	s_waitcnt lgkmcnt(0)
	s_add_u32 s4, s8, s2
	s_addc_u32 s5, s9, s3
	s_load_dwordx2 s[4:5], s[4:5], 0x0
	s_lshl_b64 s[8:9], s[10:11], 1
	v_mov_b32_e32 v3, 0
	v_lshl_or_b32 v2, s6, 9, v0
	v_lshlrev_b64 v[0:1], 1, v[2:3]
	s_waitcnt lgkmcnt(0)
	s_add_u32 s8, s4, s8
	s_addc_u32 s9, s5, s9
	s_add_u32 s2, s12, s2
	s_addc_u32 s3, s13, s3
	s_load_dwordx2 s[2:3], s[2:3], 0x0
	s_lshl_b64 s[4:5], s[14:15], 1
	s_waitcnt lgkmcnt(0)
	s_add_u32 s10, s2, s4
	s_addc_u32 s11, s3, s5
	s_add_i32 s2, s0, -1
	s_ashr_i32 s3, s2, 31
	v_cmp_gt_i64_e32 vcc, s[2:3], v[2:3]
	s_and_saveexec_b64 s[4:5], vcc
	s_cbranch_execz .LBB141_19
; %bb.2:
	v_mov_b32_e32 v4, s9
	v_add_co_u32_e32 v6, vcc, s8, v0
	v_addc_co_u32_e32 v7, vcc, v4, v1, vcc
	flat_load_ushort v9, v[6:7]
	v_mov_b32_e32 v5, s11
	v_add_co_u32_e32 v4, vcc, s10, v0
	v_addc_co_u32_e32 v5, vcc, v5, v1, vcc
	flat_load_ushort v8, v[4:5]
	s_mov_b32 s6, 0x7f800000
	s_waitcnt vmcnt(0) lgkmcnt(0)
	v_lshlrev_b32_e32 v9, 16, v9
	v_mul_f32_e32 v9, s1, v9
	v_and_b32_e32 v10, 0x7f800000, v9
	v_cmp_ne_u32_e32 vcc, s6, v10
                                        ; implicit-def: $vgpr10
	s_and_saveexec_b64 s[6:7], vcc
	s_xor_b64 s[6:7], exec, s[6:7]
; %bb.3:
	v_bfe_u32 v10, v9, 16, 1
	s_movk_i32 s12, 0x7fff
	v_add3_u32 v10, v9, v10, s12
                                        ; implicit-def: $vgpr9
; %bb.4:
	s_andn2_saveexec_b64 s[6:7], s[6:7]
; %bb.5:
	v_mov_b32_e32 v10, 0
	v_or_b32_e32 v11, 0x10000, v9
	v_cmp_eq_u32_sdwa vcc, v9, v10 src0_sel:WORD_0 src1_sel:DWORD
	v_cndmask_b32_e32 v10, v11, v9, vcc
; %bb.6:
	s_or_b64 exec, exec, s[6:7]
	v_and_b32_e32 v9, 0xffff0000, v10
	v_lshlrev_b32_e32 v8, 16, v8
	v_add_f32_e32 v8, v8, v9
	s_mov_b32 s6, 0x7f800000
	v_and_b32_e32 v9, 0x7f800000, v8
	v_cmp_ne_u32_e32 vcc, s6, v9
                                        ; implicit-def: $vgpr9
	s_and_saveexec_b64 s[6:7], vcc
	s_xor_b64 s[6:7], exec, s[6:7]
; %bb.7:
	v_bfe_u32 v9, v8, 16, 1
	s_movk_i32 s12, 0x7fff
	v_add3_u32 v9, v8, v9, s12
                                        ; implicit-def: $vgpr8
; %bb.8:
	s_andn2_saveexec_b64 s[6:7], s[6:7]
; %bb.9:
	v_mov_b32_e32 v9, 0
	v_or_b32_e32 v10, 0x10000, v8
	v_cmp_eq_u32_sdwa vcc, v8, v9 src0_sel:WORD_0 src1_sel:DWORD
	v_cndmask_b32_e32 v9, v10, v8, vcc
; %bb.10:
	s_or_b64 exec, exec, s[6:7]
	flat_store_short_d16_hi v[4:5], v9
	flat_load_ushort v9, v[6:7] offset:2
	s_nop 0
	flat_load_ushort v8, v[4:5] offset:2
	s_mov_b32 s6, 0x7f800000
	s_waitcnt vmcnt(0) lgkmcnt(0)
	v_lshlrev_b32_e32 v6, 16, v9
	v_mul_f32_e32 v6, s1, v6
	v_and_b32_e32 v7, 0x7f800000, v6
	v_cmp_ne_u32_e32 vcc, s6, v7
                                        ; implicit-def: $vgpr7
	s_and_saveexec_b64 s[6:7], vcc
	s_xor_b64 s[6:7], exec, s[6:7]
; %bb.11:
	v_bfe_u32 v7, v6, 16, 1
	s_movk_i32 s12, 0x7fff
	v_add3_u32 v7, v6, v7, s12
                                        ; implicit-def: $vgpr6
; %bb.12:
	s_andn2_saveexec_b64 s[6:7], s[6:7]
; %bb.13:
	v_mov_b32_e32 v7, 0
	v_or_b32_e32 v9, 0x10000, v6
	v_cmp_eq_u32_sdwa vcc, v6, v7 src0_sel:WORD_0 src1_sel:DWORD
	v_cndmask_b32_e32 v7, v9, v6, vcc
; %bb.14:
	s_or_b64 exec, exec, s[6:7]
	v_and_b32_e32 v6, 0xffff0000, v7
	v_lshlrev_b32_e32 v7, 16, v8
	v_add_f32_e32 v6, v7, v6
	s_mov_b32 s6, 0x7f800000
	v_and_b32_e32 v7, 0x7f800000, v6
	v_cmp_ne_u32_e32 vcc, s6, v7
                                        ; implicit-def: $vgpr7
	s_and_saveexec_b64 s[6:7], vcc
	s_xor_b64 s[6:7], exec, s[6:7]
; %bb.15:
	v_bfe_u32 v7, v6, 16, 1
	s_movk_i32 s12, 0x7fff
	v_add3_u32 v7, v6, v7, s12
                                        ; implicit-def: $vgpr6
; %bb.16:
	s_andn2_saveexec_b64 s[6:7], s[6:7]
; %bb.17:
	v_mov_b32_e32 v7, 0
	v_or_b32_e32 v8, 0x10000, v6
	v_cmp_eq_u32_sdwa vcc, v6, v7 src0_sel:WORD_0 src1_sel:DWORD
	v_cndmask_b32_e32 v7, v8, v6, vcc
; %bb.18:
	s_or_b64 exec, exec, s[6:7]
	flat_store_short_d16_hi v[4:5], v7 offset:2
.LBB141_19:
	s_or_b64 exec, exec, s[4:5]
	s_bitcmp1_b32 s0, 0
	v_cmp_eq_u64_e32 vcc, s[2:3], v[2:3]
	s_cselect_b64 s[2:3], -1, 0
	s_and_b64 s[2:3], s[2:3], vcc
	s_and_saveexec_b64 s[4:5], s[2:3]
	s_cbranch_execz .LBB141_29
; %bb.20:
	v_mov_b32_e32 v3, s9
	v_add_co_u32_e32 v2, vcc, s8, v0
	v_addc_co_u32_e32 v3, vcc, v3, v1, vcc
	flat_load_ushort v3, v[2:3]
	v_mov_b32_e32 v4, s11
	v_add_co_u32_e32 v0, vcc, s10, v0
	v_addc_co_u32_e32 v1, vcc, v4, v1, vcc
	flat_load_ushort v2, v[0:1]
	s_mov_b32 s0, 0x7f800000
	s_waitcnt vmcnt(0) lgkmcnt(0)
	v_lshlrev_b32_e32 v3, 16, v3
	v_mul_f32_e32 v3, s1, v3
	v_and_b32_e32 v4, 0x7f800000, v3
	v_cmp_ne_u32_e32 vcc, s0, v4
                                        ; implicit-def: $vgpr4
	s_and_saveexec_b64 s[0:1], vcc
	s_xor_b64 s[0:1], exec, s[0:1]
; %bb.21:
	v_bfe_u32 v4, v3, 16, 1
	s_movk_i32 s2, 0x7fff
	v_add3_u32 v4, v3, v4, s2
                                        ; implicit-def: $vgpr3
; %bb.22:
	s_andn2_saveexec_b64 s[0:1], s[0:1]
; %bb.23:
	v_mov_b32_e32 v4, 0
	v_or_b32_e32 v5, 0x10000, v3
	v_cmp_eq_u32_sdwa vcc, v3, v4 src0_sel:WORD_0 src1_sel:DWORD
	v_cndmask_b32_e32 v4, v5, v3, vcc
; %bb.24:
	s_or_b64 exec, exec, s[0:1]
	v_and_b32_e32 v3, 0xffff0000, v4
	v_lshlrev_b32_e32 v2, 16, v2
	v_add_f32_e32 v2, v2, v3
	s_mov_b32 s0, 0x7f800000
	v_and_b32_e32 v3, 0x7f800000, v2
	v_cmp_ne_u32_e32 vcc, s0, v3
                                        ; implicit-def: $vgpr3
	s_and_saveexec_b64 s[0:1], vcc
	s_xor_b64 s[0:1], exec, s[0:1]
; %bb.25:
	v_bfe_u32 v3, v2, 16, 1
	s_movk_i32 s2, 0x7fff
	v_add3_u32 v3, v2, v3, s2
                                        ; implicit-def: $vgpr2
; %bb.26:
	s_andn2_saveexec_b64 s[0:1], s[0:1]
; %bb.27:
	v_mov_b32_e32 v3, 0
	v_or_b32_e32 v4, 0x10000, v2
	v_cmp_eq_u32_sdwa vcc, v2, v3 src0_sel:WORD_0 src1_sel:DWORD
	v_cndmask_b32_e32 v3, v4, v2, vcc
; %bb.28:
	s_or_b64 exec, exec, s[0:1]
	flat_store_short_d16_hi v[0:1], v3
.LBB141_29:
	s_endpgm
	.section	.rodata,"a",@progbits
	.p2align	6, 0x0
	.amdhsa_kernel _ZL22rocblas_saxpy_2_kernelILi256EffPKPK16rocblas_bfloat16PKPS0_EviT1_lT2_llT3_lli
		.amdhsa_group_segment_fixed_size 0
		.amdhsa_private_segment_fixed_size 0
		.amdhsa_kernarg_size 68
		.amdhsa_user_sgpr_count 6
		.amdhsa_user_sgpr_private_segment_buffer 1
		.amdhsa_user_sgpr_dispatch_ptr 0
		.amdhsa_user_sgpr_queue_ptr 0
		.amdhsa_user_sgpr_kernarg_segment_ptr 1
		.amdhsa_user_sgpr_dispatch_id 0
		.amdhsa_user_sgpr_flat_scratch_init 0
		.amdhsa_user_sgpr_private_segment_size 0
		.amdhsa_uses_dynamic_stack 0
		.amdhsa_system_sgpr_private_segment_wavefront_offset 0
		.amdhsa_system_sgpr_workgroup_id_x 1
		.amdhsa_system_sgpr_workgroup_id_y 0
		.amdhsa_system_sgpr_workgroup_id_z 1
		.amdhsa_system_sgpr_workgroup_info 0
		.amdhsa_system_vgpr_workitem_id 0
		.amdhsa_next_free_vgpr 12
		.amdhsa_next_free_sgpr 16
		.amdhsa_reserve_vcc 1
		.amdhsa_reserve_flat_scratch 0
		.amdhsa_float_round_mode_32 0
		.amdhsa_float_round_mode_16_64 0
		.amdhsa_float_denorm_mode_32 3
		.amdhsa_float_denorm_mode_16_64 3
		.amdhsa_dx10_clamp 1
		.amdhsa_ieee_mode 1
		.amdhsa_fp16_overflow 0
		.amdhsa_exception_fp_ieee_invalid_op 0
		.amdhsa_exception_fp_denorm_src 0
		.amdhsa_exception_fp_ieee_div_zero 0
		.amdhsa_exception_fp_ieee_overflow 0
		.amdhsa_exception_fp_ieee_underflow 0
		.amdhsa_exception_fp_ieee_inexact 0
		.amdhsa_exception_int_div_zero 0
	.end_amdhsa_kernel
	.section	.text._ZL22rocblas_saxpy_2_kernelILi256EffPKPK16rocblas_bfloat16PKPS0_EviT1_lT2_llT3_lli,"axG",@progbits,_ZL22rocblas_saxpy_2_kernelILi256EffPKPK16rocblas_bfloat16PKPS0_EviT1_lT2_llT3_lli,comdat
.Lfunc_end141:
	.size	_ZL22rocblas_saxpy_2_kernelILi256EffPKPK16rocblas_bfloat16PKPS0_EviT1_lT2_llT3_lli, .Lfunc_end141-_ZL22rocblas_saxpy_2_kernelILi256EffPKPK16rocblas_bfloat16PKPS0_EviT1_lT2_llT3_lli
                                        ; -- End function
	.set _ZL22rocblas_saxpy_2_kernelILi256EffPKPK16rocblas_bfloat16PKPS0_EviT1_lT2_llT3_lli.num_vgpr, 12
	.set _ZL22rocblas_saxpy_2_kernelILi256EffPKPK16rocblas_bfloat16PKPS0_EviT1_lT2_llT3_lli.num_agpr, 0
	.set _ZL22rocblas_saxpy_2_kernelILi256EffPKPK16rocblas_bfloat16PKPS0_EviT1_lT2_llT3_lli.numbered_sgpr, 16
	.set _ZL22rocblas_saxpy_2_kernelILi256EffPKPK16rocblas_bfloat16PKPS0_EviT1_lT2_llT3_lli.num_named_barrier, 0
	.set _ZL22rocblas_saxpy_2_kernelILi256EffPKPK16rocblas_bfloat16PKPS0_EviT1_lT2_llT3_lli.private_seg_size, 0
	.set _ZL22rocblas_saxpy_2_kernelILi256EffPKPK16rocblas_bfloat16PKPS0_EviT1_lT2_llT3_lli.uses_vcc, 1
	.set _ZL22rocblas_saxpy_2_kernelILi256EffPKPK16rocblas_bfloat16PKPS0_EviT1_lT2_llT3_lli.uses_flat_scratch, 0
	.set _ZL22rocblas_saxpy_2_kernelILi256EffPKPK16rocblas_bfloat16PKPS0_EviT1_lT2_llT3_lli.has_dyn_sized_stack, 0
	.set _ZL22rocblas_saxpy_2_kernelILi256EffPKPK16rocblas_bfloat16PKPS0_EviT1_lT2_llT3_lli.has_recursion, 0
	.set _ZL22rocblas_saxpy_2_kernelILi256EffPKPK16rocblas_bfloat16PKPS0_EviT1_lT2_llT3_lli.has_indirect_call, 0
	.section	.AMDGPU.csdata,"",@progbits
; Kernel info:
; codeLenInByte = 888
; TotalNumSgprs: 20
; NumVgprs: 12
; ScratchSize: 0
; MemoryBound: 0
; FloatMode: 240
; IeeeMode: 1
; LDSByteSize: 0 bytes/workgroup (compile time only)
; SGPRBlocks: 2
; VGPRBlocks: 2
; NumSGPRsForWavesPerEU: 20
; NumVGPRsForWavesPerEU: 12
; Occupancy: 10
; WaveLimiterHint : 1
; COMPUTE_PGM_RSRC2:SCRATCH_EN: 0
; COMPUTE_PGM_RSRC2:USER_SGPR: 6
; COMPUTE_PGM_RSRC2:TRAP_HANDLER: 0
; COMPUTE_PGM_RSRC2:TGID_X_EN: 1
; COMPUTE_PGM_RSRC2:TGID_Y_EN: 0
; COMPUTE_PGM_RSRC2:TGID_Z_EN: 1
; COMPUTE_PGM_RSRC2:TIDIG_COMP_CNT: 0
	.section	.text._ZL27rocblas_axpy_kernel_batchedIiLi128ELi8EfPKfPKPK16rocblas_bfloat16PKPS2_EviT3_lT4_lT_lT5_lSC_li,"axG",@progbits,_ZL27rocblas_axpy_kernel_batchedIiLi128ELi8EfPKfPKPK16rocblas_bfloat16PKPS2_EviT3_lT4_lT_lT5_lSC_li,comdat
	.globl	_ZL27rocblas_axpy_kernel_batchedIiLi128ELi8EfPKfPKPK16rocblas_bfloat16PKPS2_EviT3_lT4_lT_lT5_lSC_li ; -- Begin function _ZL27rocblas_axpy_kernel_batchedIiLi128ELi8EfPKfPKPK16rocblas_bfloat16PKPS2_EviT3_lT4_lT_lT5_lSC_li
	.p2align	8
	.type	_ZL27rocblas_axpy_kernel_batchedIiLi128ELi8EfPKfPKPK16rocblas_bfloat16PKPS2_EviT3_lT4_lT_lT5_lSC_li,@function
_ZL27rocblas_axpy_kernel_batchedIiLi128ELi8EfPKfPKPK16rocblas_bfloat16PKPS2_EviT3_lT4_lT_lT5_lSC_li: ; @_ZL27rocblas_axpy_kernel_batchedIiLi128ELi8EfPKfPKPK16rocblas_bfloat16PKPS2_EviT3_lT4_lT_lT5_lSC_li
; %bb.0:
	s_load_dword s0, s[4:5], 0x0
	v_lshl_add_u32 v6, s6, 7, v0
	v_mov_b32_e32 v7, 0
	s_waitcnt lgkmcnt(0)
	s_ashr_i32 s1, s0, 31
	v_cmp_gt_i64_e32 vcc, s[0:1], v[6:7]
	s_and_saveexec_b64 s[0:1], vcc
	s_cbranch_execz .LBB142_45
; %bb.1:
	s_load_dword s6, s[4:5], 0x28
	s_load_dwordx8 s[8:15], s[4:5], 0x8
	s_load_dwordx4 s[0:3], s[4:5], 0x38
	s_load_dword s17, s[4:5], 0x48
	s_load_dword s16, s[4:5], 0x58
	s_waitcnt lgkmcnt(0)
	v_mad_u64_u32 v[2:3], s[4:5], s6, v6, 0
	s_ashr_i32 s18, s6, 31
	v_mad_u64_u32 v[4:5], s[4:5], s17, v6, 0
	v_mov_b32_e32 v0, v3
	s_ashr_i32 s6, s17, 31
	v_mad_u64_u32 v[7:8], s[4:5], s18, v6, v[0:1]
	v_mov_b32_e32 v0, v5
	v_mad_u64_u32 v[5:6], s[4:5], s6, v6, v[0:1]
	v_lshlrev_b32_e32 v0, 2, v1
	v_lshl_add_u32 v0, s7, 5, v0
	v_mov_b32_e32 v3, v7
	v_cmp_gt_u32_e32 vcc, s16, v0
	s_and_saveexec_b64 s[4:5], vcc
	s_cbranch_execz .LBB142_12
; %bb.2:
	v_mad_u64_u32 v[6:7], s[6:7], s10, v0, 0
	v_mov_b32_e32 v1, v7
	v_mad_u64_u32 v[7:8], s[6:7], s11, v0, v[1:2]
	v_mov_b32_e32 v1, s9
	v_lshlrev_b64 v[6:7], 2, v[6:7]
	v_add_co_u32_e32 v6, vcc, s8, v6
	v_addc_co_u32_e32 v7, vcc, v1, v7, vcc
	global_load_dword v8, v[6:7], off
	s_waitcnt vmcnt(0)
	v_cmp_neq_f32_e32 vcc, 0, v8
	s_and_b64 exec, exec, vcc
	s_cbranch_execz .LBB142_12
; %bb.3:
	v_mov_b32_e32 v1, 0
	v_lshlrev_b64 v[6:7], 3, v[0:1]
	v_mov_b32_e32 v1, s13
	v_add_co_u32_e32 v9, vcc, s12, v6
	v_addc_co_u32_e32 v10, vcc, v1, v7, vcc
	global_load_dwordx2 v[9:10], v[9:10], off
	v_mov_b32_e32 v1, s1
	v_add_co_u32_e32 v6, vcc, s0, v6
	v_addc_co_u32_e32 v7, vcc, v1, v7, vcc
	global_load_dwordx2 v[6:7], v[6:7], off
	s_lshl_b64 s[6:7], s[14:15], 1
	v_mov_b32_e32 v1, s7
	s_lshl_b64 s[18:19], s[2:3], 1
	v_lshlrev_b64 v[11:12], 1, v[2:3]
	v_mov_b32_e32 v15, s19
	v_lshlrev_b64 v[13:14], 1, v[4:5]
	s_waitcnt vmcnt(1)
	v_add_co_u32_e32 v9, vcc, s6, v9
	v_addc_co_u32_e32 v1, vcc, v10, v1, vcc
	s_mov_b32 s6, 0x7f800000
	s_waitcnt vmcnt(0)
	v_add_co_u32_e32 v10, vcc, s18, v6
	v_addc_co_u32_e32 v15, vcc, v7, v15, vcc
	v_add_co_u32_e32 v6, vcc, v9, v11
	v_addc_co_u32_e32 v7, vcc, v1, v12, vcc
	flat_load_ushort v9, v[6:7]
	v_add_co_u32_e32 v6, vcc, v10, v13
	v_addc_co_u32_e32 v7, vcc, v15, v14, vcc
	flat_load_ushort v1, v[6:7]
	s_waitcnt vmcnt(0) lgkmcnt(0)
	v_lshlrev_b32_e32 v9, 16, v9
	v_mul_f32_e32 v8, v8, v9
	v_and_b32_e32 v9, 0x7f800000, v8
	v_cmp_ne_u32_e32 vcc, s6, v9
                                        ; implicit-def: $vgpr9
	s_and_saveexec_b64 s[6:7], vcc
	s_xor_b64 s[6:7], exec, s[6:7]
; %bb.4:
	v_bfe_u32 v9, v8, 16, 1
	s_movk_i32 s17, 0x7fff
	v_add3_u32 v9, v8, v9, s17
                                        ; implicit-def: $vgpr8
; %bb.5:
	s_andn2_saveexec_b64 s[6:7], s[6:7]
; %bb.6:
	v_mov_b32_e32 v9, 0
	v_or_b32_e32 v10, 0x10000, v8
	v_cmp_eq_u32_sdwa vcc, v8, v9 src0_sel:WORD_0 src1_sel:DWORD
	v_cndmask_b32_e32 v9, v10, v8, vcc
; %bb.7:
	s_or_b64 exec, exec, s[6:7]
	v_and_b32_e32 v8, 0xffff0000, v9
	v_lshlrev_b32_e32 v1, 16, v1
	v_add_f32_e32 v1, v1, v8
	s_mov_b32 s6, 0x7f800000
	v_and_b32_e32 v8, 0x7f800000, v1
	v_cmp_ne_u32_e32 vcc, s6, v8
                                        ; implicit-def: $vgpr8
	s_and_saveexec_b64 s[6:7], vcc
	s_xor_b64 s[6:7], exec, s[6:7]
; %bb.8:
	v_bfe_u32 v8, v1, 16, 1
	s_movk_i32 s17, 0x7fff
	v_add3_u32 v8, v1, v8, s17
                                        ; implicit-def: $vgpr1
; %bb.9:
	s_andn2_saveexec_b64 s[6:7], s[6:7]
; %bb.10:
	v_mov_b32_e32 v8, 0
	v_or_b32_e32 v9, 0x10000, v1
	v_cmp_eq_u32_sdwa vcc, v1, v8 src0_sel:WORD_0 src1_sel:DWORD
	v_cndmask_b32_e32 v8, v9, v1, vcc
; %bb.11:
	s_or_b64 exec, exec, s[6:7]
	flat_store_short_d16_hi v[6:7], v8
.LBB142_12:
	s_or_b64 exec, exec, s[4:5]
	v_or_b32_e32 v1, 1, v0
	v_cmp_gt_u32_e32 vcc, s16, v1
	s_and_saveexec_b64 s[4:5], vcc
	s_cbranch_execz .LBB142_23
; %bb.13:
	v_mad_u64_u32 v[6:7], s[6:7], s10, v1, 0
	v_mad_u64_u32 v[7:8], s[6:7], s11, v1, v[7:8]
	v_mov_b32_e32 v1, s9
	v_lshlrev_b64 v[6:7], 2, v[6:7]
	v_add_co_u32_e32 v6, vcc, s8, v6
	v_addc_co_u32_e32 v7, vcc, v1, v7, vcc
	global_load_dword v8, v[6:7], off
	s_waitcnt vmcnt(0)
	v_cmp_neq_f32_e32 vcc, 0, v8
	s_and_b64 exec, exec, vcc
	s_cbranch_execz .LBB142_23
; %bb.14:
	v_mov_b32_e32 v1, 0
	v_lshlrev_b64 v[6:7], 3, v[0:1]
	v_mov_b32_e32 v1, s13
	v_add_co_u32_e32 v9, vcc, s12, v6
	v_addc_co_u32_e32 v10, vcc, v1, v7, vcc
	global_load_dwordx2 v[9:10], v[9:10], off offset:8
	v_mov_b32_e32 v1, s1
	v_add_co_u32_e32 v6, vcc, s0, v6
	v_addc_co_u32_e32 v7, vcc, v1, v7, vcc
	global_load_dwordx2 v[6:7], v[6:7], off offset:8
	s_lshl_b64 s[6:7], s[14:15], 1
	v_mov_b32_e32 v1, s7
	s_lshl_b64 s[18:19], s[2:3], 1
	v_lshlrev_b64 v[11:12], 1, v[2:3]
	v_mov_b32_e32 v15, s19
	v_lshlrev_b64 v[13:14], 1, v[4:5]
	s_waitcnt vmcnt(0)
	v_add_co_u32_e32 v9, vcc, s6, v9
	v_addc_co_u32_e32 v1, vcc, v10, v1, vcc
	s_mov_b32 s6, 0x7f800000
	v_add_co_u32_e32 v10, vcc, s18, v6
	v_addc_co_u32_e32 v15, vcc, v7, v15, vcc
	v_add_co_u32_e32 v6, vcc, v9, v11
	v_addc_co_u32_e32 v7, vcc, v1, v12, vcc
	flat_load_ushort v9, v[6:7]
	v_add_co_u32_e32 v6, vcc, v10, v13
	v_addc_co_u32_e32 v7, vcc, v15, v14, vcc
	flat_load_ushort v1, v[6:7]
	s_waitcnt vmcnt(0) lgkmcnt(0)
	v_lshlrev_b32_e32 v9, 16, v9
	v_mul_f32_e32 v8, v8, v9
	v_and_b32_e32 v9, 0x7f800000, v8
	v_cmp_ne_u32_e32 vcc, s6, v9
                                        ; implicit-def: $vgpr9
	s_and_saveexec_b64 s[6:7], vcc
	s_xor_b64 s[6:7], exec, s[6:7]
; %bb.15:
	v_bfe_u32 v9, v8, 16, 1
	s_movk_i32 s17, 0x7fff
	v_add3_u32 v9, v8, v9, s17
                                        ; implicit-def: $vgpr8
; %bb.16:
	s_andn2_saveexec_b64 s[6:7], s[6:7]
; %bb.17:
	v_mov_b32_e32 v9, 0
	v_or_b32_e32 v10, 0x10000, v8
	v_cmp_eq_u32_sdwa vcc, v8, v9 src0_sel:WORD_0 src1_sel:DWORD
	v_cndmask_b32_e32 v9, v10, v8, vcc
; %bb.18:
	s_or_b64 exec, exec, s[6:7]
	v_and_b32_e32 v8, 0xffff0000, v9
	v_lshlrev_b32_e32 v1, 16, v1
	v_add_f32_e32 v1, v1, v8
	s_mov_b32 s6, 0x7f800000
	v_and_b32_e32 v8, 0x7f800000, v1
	v_cmp_ne_u32_e32 vcc, s6, v8
                                        ; implicit-def: $vgpr8
	s_and_saveexec_b64 s[6:7], vcc
	s_xor_b64 s[6:7], exec, s[6:7]
; %bb.19:
	v_bfe_u32 v8, v1, 16, 1
	s_movk_i32 s17, 0x7fff
	v_add3_u32 v8, v1, v8, s17
                                        ; implicit-def: $vgpr1
; %bb.20:
	s_andn2_saveexec_b64 s[6:7], s[6:7]
; %bb.21:
	v_mov_b32_e32 v8, 0
	v_or_b32_e32 v9, 0x10000, v1
	v_cmp_eq_u32_sdwa vcc, v1, v8 src0_sel:WORD_0 src1_sel:DWORD
	v_cndmask_b32_e32 v8, v9, v1, vcc
; %bb.22:
	s_or_b64 exec, exec, s[6:7]
	flat_store_short_d16_hi v[6:7], v8
.LBB142_23:
	s_or_b64 exec, exec, s[4:5]
	v_or_b32_e32 v1, 2, v0
	v_cmp_gt_u32_e32 vcc, s16, v1
	s_and_saveexec_b64 s[4:5], vcc
	s_cbranch_execz .LBB142_34
; %bb.24:
	v_mad_u64_u32 v[6:7], s[6:7], s10, v1, 0
	v_mad_u64_u32 v[7:8], s[6:7], s11, v1, v[7:8]
	v_mov_b32_e32 v1, s9
	v_lshlrev_b64 v[6:7], 2, v[6:7]
	v_add_co_u32_e32 v6, vcc, s8, v6
	v_addc_co_u32_e32 v7, vcc, v1, v7, vcc
	global_load_dword v8, v[6:7], off
	s_waitcnt vmcnt(0)
	v_cmp_neq_f32_e32 vcc, 0, v8
	s_and_b64 exec, exec, vcc
	s_cbranch_execz .LBB142_34
; %bb.25:
	v_mov_b32_e32 v1, 0
	v_lshlrev_b64 v[6:7], 3, v[0:1]
	v_mov_b32_e32 v1, s13
	v_add_co_u32_e32 v9, vcc, s12, v6
	v_addc_co_u32_e32 v10, vcc, v1, v7, vcc
	global_load_dwordx2 v[9:10], v[9:10], off offset:16
	v_mov_b32_e32 v1, s1
	v_add_co_u32_e32 v6, vcc, s0, v6
	v_addc_co_u32_e32 v7, vcc, v1, v7, vcc
	global_load_dwordx2 v[6:7], v[6:7], off offset:16
	s_lshl_b64 s[6:7], s[14:15], 1
	v_mov_b32_e32 v1, s7
	s_lshl_b64 s[18:19], s[2:3], 1
	v_lshlrev_b64 v[11:12], 1, v[2:3]
	v_mov_b32_e32 v15, s19
	v_lshlrev_b64 v[13:14], 1, v[4:5]
	s_waitcnt vmcnt(0)
	v_add_co_u32_e32 v9, vcc, s6, v9
	v_addc_co_u32_e32 v1, vcc, v10, v1, vcc
	s_mov_b32 s6, 0x7f800000
	v_add_co_u32_e32 v10, vcc, s18, v6
	v_addc_co_u32_e32 v15, vcc, v7, v15, vcc
	v_add_co_u32_e32 v6, vcc, v9, v11
	v_addc_co_u32_e32 v7, vcc, v1, v12, vcc
	flat_load_ushort v9, v[6:7]
	v_add_co_u32_e32 v6, vcc, v10, v13
	v_addc_co_u32_e32 v7, vcc, v15, v14, vcc
	flat_load_ushort v1, v[6:7]
	s_waitcnt vmcnt(0) lgkmcnt(0)
	v_lshlrev_b32_e32 v9, 16, v9
	v_mul_f32_e32 v8, v8, v9
	v_and_b32_e32 v9, 0x7f800000, v8
	v_cmp_ne_u32_e32 vcc, s6, v9
                                        ; implicit-def: $vgpr9
	s_and_saveexec_b64 s[6:7], vcc
	s_xor_b64 s[6:7], exec, s[6:7]
; %bb.26:
	v_bfe_u32 v9, v8, 16, 1
	s_movk_i32 s17, 0x7fff
	v_add3_u32 v9, v8, v9, s17
                                        ; implicit-def: $vgpr8
; %bb.27:
	s_andn2_saveexec_b64 s[6:7], s[6:7]
; %bb.28:
	v_mov_b32_e32 v9, 0
	v_or_b32_e32 v10, 0x10000, v8
	v_cmp_eq_u32_sdwa vcc, v8, v9 src0_sel:WORD_0 src1_sel:DWORD
	v_cndmask_b32_e32 v9, v10, v8, vcc
; %bb.29:
	s_or_b64 exec, exec, s[6:7]
	v_and_b32_e32 v8, 0xffff0000, v9
	v_lshlrev_b32_e32 v1, 16, v1
	v_add_f32_e32 v1, v1, v8
	s_mov_b32 s6, 0x7f800000
	v_and_b32_e32 v8, 0x7f800000, v1
	v_cmp_ne_u32_e32 vcc, s6, v8
                                        ; implicit-def: $vgpr8
	s_and_saveexec_b64 s[6:7], vcc
	s_xor_b64 s[6:7], exec, s[6:7]
; %bb.30:
	v_bfe_u32 v8, v1, 16, 1
	s_movk_i32 s17, 0x7fff
	v_add3_u32 v8, v1, v8, s17
                                        ; implicit-def: $vgpr1
; %bb.31:
	s_andn2_saveexec_b64 s[6:7], s[6:7]
; %bb.32:
	v_mov_b32_e32 v8, 0
	v_or_b32_e32 v9, 0x10000, v1
	v_cmp_eq_u32_sdwa vcc, v1, v8 src0_sel:WORD_0 src1_sel:DWORD
	v_cndmask_b32_e32 v8, v9, v1, vcc
; %bb.33:
	s_or_b64 exec, exec, s[6:7]
	flat_store_short_d16_hi v[6:7], v8
.LBB142_34:
	s_or_b64 exec, exec, s[4:5]
	v_or_b32_e32 v1, 3, v0
	v_cmp_gt_u32_e32 vcc, s16, v1
	s_and_b64 exec, exec, vcc
	s_cbranch_execz .LBB142_45
; %bb.35:
	v_mad_u64_u32 v[6:7], s[4:5], s10, v1, 0
	v_mad_u64_u32 v[7:8], s[4:5], s11, v1, v[7:8]
	v_mov_b32_e32 v1, s9
	v_lshlrev_b64 v[6:7], 2, v[6:7]
	v_add_co_u32_e32 v6, vcc, s8, v6
	v_addc_co_u32_e32 v7, vcc, v1, v7, vcc
	global_load_dword v6, v[6:7], off
	s_waitcnt vmcnt(0)
	v_cmp_neq_f32_e32 vcc, 0, v6
	s_and_b64 exec, exec, vcc
	s_cbranch_execz .LBB142_45
; %bb.36:
	v_mov_b32_e32 v1, 0
	v_lshlrev_b64 v[0:1], 3, v[0:1]
	v_mov_b32_e32 v8, s13
	v_add_co_u32_e32 v7, vcc, s12, v0
	v_addc_co_u32_e32 v8, vcc, v8, v1, vcc
	global_load_dwordx2 v[7:8], v[7:8], off offset:24
	v_mov_b32_e32 v9, s1
	v_add_co_u32_e32 v0, vcc, s0, v0
	v_addc_co_u32_e32 v1, vcc, v9, v1, vcc
	global_load_dwordx2 v[0:1], v[0:1], off offset:24
	s_lshl_b64 s[0:1], s[14:15], 1
	v_mov_b32_e32 v9, s1
	s_lshl_b64 s[2:3], s[2:3], 1
	v_lshlrev_b64 v[2:3], 1, v[2:3]
	v_mov_b32_e32 v10, s3
	v_lshlrev_b64 v[4:5], 1, v[4:5]
	s_waitcnt vmcnt(0)
	v_add_co_u32_e32 v7, vcc, s0, v7
	v_addc_co_u32_e32 v8, vcc, v8, v9, vcc
	s_mov_b32 s0, 0x7f800000
	v_add_co_u32_e32 v9, vcc, s2, v0
	v_addc_co_u32_e32 v10, vcc, v1, v10, vcc
	v_add_co_u32_e32 v0, vcc, v7, v2
	v_addc_co_u32_e32 v1, vcc, v8, v3, vcc
	flat_load_ushort v3, v[0:1]
	v_add_co_u32_e32 v0, vcc, v9, v4
	v_addc_co_u32_e32 v1, vcc, v10, v5, vcc
	flat_load_ushort v2, v[0:1]
	s_waitcnt vmcnt(0) lgkmcnt(0)
	v_lshlrev_b32_e32 v3, 16, v3
	v_mul_f32_e32 v3, v6, v3
	v_and_b32_e32 v4, 0x7f800000, v3
	v_cmp_ne_u32_e32 vcc, s0, v4
                                        ; implicit-def: $vgpr4
	s_and_saveexec_b64 s[0:1], vcc
	s_xor_b64 s[0:1], exec, s[0:1]
; %bb.37:
	v_bfe_u32 v4, v3, 16, 1
	s_movk_i32 s2, 0x7fff
	v_add3_u32 v4, v3, v4, s2
                                        ; implicit-def: $vgpr3
; %bb.38:
	s_andn2_saveexec_b64 s[0:1], s[0:1]
; %bb.39:
	v_mov_b32_e32 v4, 0
	v_or_b32_e32 v5, 0x10000, v3
	v_cmp_eq_u32_sdwa vcc, v3, v4 src0_sel:WORD_0 src1_sel:DWORD
	v_cndmask_b32_e32 v4, v5, v3, vcc
; %bb.40:
	s_or_b64 exec, exec, s[0:1]
	v_and_b32_e32 v3, 0xffff0000, v4
	v_lshlrev_b32_e32 v2, 16, v2
	v_add_f32_e32 v2, v2, v3
	s_mov_b32 s0, 0x7f800000
	v_and_b32_e32 v3, 0x7f800000, v2
	v_cmp_ne_u32_e32 vcc, s0, v3
                                        ; implicit-def: $vgpr3
	s_and_saveexec_b64 s[0:1], vcc
	s_xor_b64 s[0:1], exec, s[0:1]
; %bb.41:
	v_bfe_u32 v3, v2, 16, 1
	s_movk_i32 s2, 0x7fff
	v_add3_u32 v3, v2, v3, s2
                                        ; implicit-def: $vgpr2
; %bb.42:
	s_andn2_saveexec_b64 s[0:1], s[0:1]
; %bb.43:
	v_mov_b32_e32 v3, 0
	v_or_b32_e32 v4, 0x10000, v2
	v_cmp_eq_u32_sdwa vcc, v2, v3 src0_sel:WORD_0 src1_sel:DWORD
	v_cndmask_b32_e32 v3, v4, v2, vcc
; %bb.44:
	s_or_b64 exec, exec, s[0:1]
	flat_store_short_d16_hi v[0:1], v3
.LBB142_45:
	s_endpgm
	.section	.rodata,"a",@progbits
	.p2align	6, 0x0
	.amdhsa_kernel _ZL27rocblas_axpy_kernel_batchedIiLi128ELi8EfPKfPKPK16rocblas_bfloat16PKPS2_EviT3_lT4_lT_lT5_lSC_li
		.amdhsa_group_segment_fixed_size 0
		.amdhsa_private_segment_fixed_size 0
		.amdhsa_kernarg_size 92
		.amdhsa_user_sgpr_count 6
		.amdhsa_user_sgpr_private_segment_buffer 1
		.amdhsa_user_sgpr_dispatch_ptr 0
		.amdhsa_user_sgpr_queue_ptr 0
		.amdhsa_user_sgpr_kernarg_segment_ptr 1
		.amdhsa_user_sgpr_dispatch_id 0
		.amdhsa_user_sgpr_flat_scratch_init 0
		.amdhsa_user_sgpr_private_segment_size 0
		.amdhsa_uses_dynamic_stack 0
		.amdhsa_system_sgpr_private_segment_wavefront_offset 0
		.amdhsa_system_sgpr_workgroup_id_x 1
		.amdhsa_system_sgpr_workgroup_id_y 0
		.amdhsa_system_sgpr_workgroup_id_z 1
		.amdhsa_system_sgpr_workgroup_info 0
		.amdhsa_system_vgpr_workitem_id 1
		.amdhsa_next_free_vgpr 16
		.amdhsa_next_free_sgpr 20
		.amdhsa_reserve_vcc 1
		.amdhsa_reserve_flat_scratch 0
		.amdhsa_float_round_mode_32 0
		.amdhsa_float_round_mode_16_64 0
		.amdhsa_float_denorm_mode_32 3
		.amdhsa_float_denorm_mode_16_64 3
		.amdhsa_dx10_clamp 1
		.amdhsa_ieee_mode 1
		.amdhsa_fp16_overflow 0
		.amdhsa_exception_fp_ieee_invalid_op 0
		.amdhsa_exception_fp_denorm_src 0
		.amdhsa_exception_fp_ieee_div_zero 0
		.amdhsa_exception_fp_ieee_overflow 0
		.amdhsa_exception_fp_ieee_underflow 0
		.amdhsa_exception_fp_ieee_inexact 0
		.amdhsa_exception_int_div_zero 0
	.end_amdhsa_kernel
	.section	.text._ZL27rocblas_axpy_kernel_batchedIiLi128ELi8EfPKfPKPK16rocblas_bfloat16PKPS2_EviT3_lT4_lT_lT5_lSC_li,"axG",@progbits,_ZL27rocblas_axpy_kernel_batchedIiLi128ELi8EfPKfPKPK16rocblas_bfloat16PKPS2_EviT3_lT4_lT_lT5_lSC_li,comdat
.Lfunc_end142:
	.size	_ZL27rocblas_axpy_kernel_batchedIiLi128ELi8EfPKfPKPK16rocblas_bfloat16PKPS2_EviT3_lT4_lT_lT5_lSC_li, .Lfunc_end142-_ZL27rocblas_axpy_kernel_batchedIiLi128ELi8EfPKfPKPK16rocblas_bfloat16PKPS2_EviT3_lT4_lT_lT5_lSC_li
                                        ; -- End function
	.set _ZL27rocblas_axpy_kernel_batchedIiLi128ELi8EfPKfPKPK16rocblas_bfloat16PKPS2_EviT3_lT4_lT_lT5_lSC_li.num_vgpr, 16
	.set _ZL27rocblas_axpy_kernel_batchedIiLi128ELi8EfPKfPKPK16rocblas_bfloat16PKPS2_EviT3_lT4_lT_lT5_lSC_li.num_agpr, 0
	.set _ZL27rocblas_axpy_kernel_batchedIiLi128ELi8EfPKfPKPK16rocblas_bfloat16PKPS2_EviT3_lT4_lT_lT5_lSC_li.numbered_sgpr, 20
	.set _ZL27rocblas_axpy_kernel_batchedIiLi128ELi8EfPKfPKPK16rocblas_bfloat16PKPS2_EviT3_lT4_lT_lT5_lSC_li.num_named_barrier, 0
	.set _ZL27rocblas_axpy_kernel_batchedIiLi128ELi8EfPKfPKPK16rocblas_bfloat16PKPS2_EviT3_lT4_lT_lT5_lSC_li.private_seg_size, 0
	.set _ZL27rocblas_axpy_kernel_batchedIiLi128ELi8EfPKfPKPK16rocblas_bfloat16PKPS2_EviT3_lT4_lT_lT5_lSC_li.uses_vcc, 1
	.set _ZL27rocblas_axpy_kernel_batchedIiLi128ELi8EfPKfPKPK16rocblas_bfloat16PKPS2_EviT3_lT4_lT_lT5_lSC_li.uses_flat_scratch, 0
	.set _ZL27rocblas_axpy_kernel_batchedIiLi128ELi8EfPKfPKPK16rocblas_bfloat16PKPS2_EviT3_lT4_lT_lT5_lSC_li.has_dyn_sized_stack, 0
	.set _ZL27rocblas_axpy_kernel_batchedIiLi128ELi8EfPKfPKPK16rocblas_bfloat16PKPS2_EviT3_lT4_lT_lT5_lSC_li.has_recursion, 0
	.set _ZL27rocblas_axpy_kernel_batchedIiLi128ELi8EfPKfPKPK16rocblas_bfloat16PKPS2_EviT3_lT4_lT_lT5_lSC_li.has_indirect_call, 0
	.section	.AMDGPU.csdata,"",@progbits
; Kernel info:
; codeLenInByte = 1800
; TotalNumSgprs: 24
; NumVgprs: 16
; ScratchSize: 0
; MemoryBound: 0
; FloatMode: 240
; IeeeMode: 1
; LDSByteSize: 0 bytes/workgroup (compile time only)
; SGPRBlocks: 2
; VGPRBlocks: 3
; NumSGPRsForWavesPerEU: 24
; NumVGPRsForWavesPerEU: 16
; Occupancy: 10
; WaveLimiterHint : 1
; COMPUTE_PGM_RSRC2:SCRATCH_EN: 0
; COMPUTE_PGM_RSRC2:USER_SGPR: 6
; COMPUTE_PGM_RSRC2:TRAP_HANDLER: 0
; COMPUTE_PGM_RSRC2:TGID_X_EN: 1
; COMPUTE_PGM_RSRC2:TGID_Y_EN: 0
; COMPUTE_PGM_RSRC2:TGID_Z_EN: 1
; COMPUTE_PGM_RSRC2:TIDIG_COMP_CNT: 1
	.section	.text._ZL27rocblas_axpy_kernel_batchedIiLi128ELi8EffPKPK16rocblas_bfloat16PKPS0_EviT3_lT4_lT_lT5_lSA_li,"axG",@progbits,_ZL27rocblas_axpy_kernel_batchedIiLi128ELi8EffPKPK16rocblas_bfloat16PKPS0_EviT3_lT4_lT_lT5_lSA_li,comdat
	.globl	_ZL27rocblas_axpy_kernel_batchedIiLi128ELi8EffPKPK16rocblas_bfloat16PKPS0_EviT3_lT4_lT_lT5_lSA_li ; -- Begin function _ZL27rocblas_axpy_kernel_batchedIiLi128ELi8EffPKPK16rocblas_bfloat16PKPS0_EviT3_lT4_lT_lT5_lSA_li
	.p2align	8
	.type	_ZL27rocblas_axpy_kernel_batchedIiLi128ELi8EffPKPK16rocblas_bfloat16PKPS0_EviT3_lT4_lT_lT5_lSA_li,@function
_ZL27rocblas_axpy_kernel_batchedIiLi128ELi8EffPKPK16rocblas_bfloat16PKPS0_EviT3_lT4_lT_lT5_lSA_li: ; @_ZL27rocblas_axpy_kernel_batchedIiLi128ELi8EffPKPK16rocblas_bfloat16PKPS0_EviT3_lT4_lT_lT5_lSA_li
; %bb.0:
	s_load_dwordx2 s[12:13], s[4:5], 0x0
	v_lshl_add_u32 v2, s6, 7, v0
	v_mov_b32_e32 v3, 0
	s_waitcnt lgkmcnt(0)
	s_ashr_i32 s1, s12, 31
	s_mov_b32 s0, s12
	v_cmp_gt_i64_e32 vcc, s[0:1], v[2:3]
	s_and_saveexec_b64 s[0:1], vcc
	s_cbranch_execz .LBB143_41
; %bb.1:
	s_load_dword s6, s[4:5], 0x20
	s_load_dwordx4 s[0:3], s[4:5], 0x10
	s_load_dwordx4 s[8:11], s[4:5], 0x30
	s_load_dword s14, s[4:5], 0x40
	s_load_dword s12, s[4:5], 0x50
	s_waitcnt lgkmcnt(0)
	v_mad_u64_u32 v[5:6], s[4:5], s6, v2, 0
	s_ashr_i32 s15, s6, 31
	v_mad_u64_u32 v[7:8], s[4:5], s14, v2, 0
	v_mov_b32_e32 v0, v6
	s_ashr_i32 s6, s14, 31
	v_mad_u64_u32 v[3:4], s[4:5], s15, v2, v[0:1]
	v_mov_b32_e32 v0, v8
	v_mad_u64_u32 v[8:9], s[4:5], s6, v2, v[0:1]
	v_lshlrev_b32_e32 v0, 2, v1
	v_lshl_add_u32 v4, s7, 5, v0
	v_mov_b32_e32 v6, v3
	v_cmp_neq_f32_e64 s[4:5], s13, 0
	v_cmp_gt_u32_e32 vcc, s12, v4
	v_lshlrev_b64 v[2:3], 1, v[5:6]
	v_lshlrev_b64 v[0:1], 1, v[7:8]
	s_and_b64 s[14:15], s[4:5], vcc
	s_and_saveexec_b64 s[6:7], s[14:15]
	s_cbranch_execz .LBB143_11
; %bb.2:
	v_mov_b32_e32 v5, 0
	v_lshlrev_b64 v[5:6], 3, v[4:5]
	v_mov_b32_e32 v8, s1
	v_add_co_u32_e32 v7, vcc, s0, v5
	v_addc_co_u32_e32 v8, vcc, v8, v6, vcc
	global_load_dwordx2 v[7:8], v[7:8], off
	v_mov_b32_e32 v9, s9
	v_add_co_u32_e32 v5, vcc, s8, v5
	v_addc_co_u32_e32 v6, vcc, v9, v6, vcc
	global_load_dwordx2 v[5:6], v[5:6], off
	s_lshl_b64 s[14:15], s[2:3], 1
	v_mov_b32_e32 v9, s15
	s_lshl_b64 s[16:17], s[10:11], 1
	v_mov_b32_e32 v10, s17
	s_waitcnt vmcnt(1)
	v_add_co_u32_e32 v7, vcc, s14, v7
	v_addc_co_u32_e32 v8, vcc, v8, v9, vcc
	s_mov_b32 s14, 0x7f800000
	s_waitcnt vmcnt(0)
	v_add_co_u32_e32 v9, vcc, s16, v5
	v_addc_co_u32_e32 v10, vcc, v6, v10, vcc
	v_add_co_u32_e32 v5, vcc, v7, v2
	v_addc_co_u32_e32 v6, vcc, v8, v3, vcc
	flat_load_ushort v8, v[5:6]
	v_add_co_u32_e32 v5, vcc, v9, v0
	v_addc_co_u32_e32 v6, vcc, v10, v1, vcc
	flat_load_ushort v7, v[5:6]
	s_waitcnt vmcnt(0) lgkmcnt(0)
	v_lshlrev_b32_e32 v8, 16, v8
	v_mul_f32_e32 v8, s13, v8
	v_and_b32_e32 v9, 0x7f800000, v8
	v_cmp_ne_u32_e32 vcc, s14, v9
                                        ; implicit-def: $vgpr9
	s_and_saveexec_b64 s[14:15], vcc
	s_xor_b64 s[14:15], exec, s[14:15]
; %bb.3:
	v_bfe_u32 v9, v8, 16, 1
	s_movk_i32 s16, 0x7fff
	v_add3_u32 v9, v8, v9, s16
                                        ; implicit-def: $vgpr8
; %bb.4:
	s_andn2_saveexec_b64 s[14:15], s[14:15]
; %bb.5:
	v_mov_b32_e32 v9, 0
	v_or_b32_e32 v10, 0x10000, v8
	v_cmp_eq_u32_sdwa vcc, v8, v9 src0_sel:WORD_0 src1_sel:DWORD
	v_cndmask_b32_e32 v9, v10, v8, vcc
; %bb.6:
	s_or_b64 exec, exec, s[14:15]
	v_and_b32_e32 v8, 0xffff0000, v9
	v_lshlrev_b32_e32 v7, 16, v7
	v_add_f32_e32 v7, v7, v8
	s_mov_b32 s14, 0x7f800000
	v_and_b32_e32 v8, 0x7f800000, v7
	v_cmp_ne_u32_e32 vcc, s14, v8
                                        ; implicit-def: $vgpr8
	s_and_saveexec_b64 s[14:15], vcc
	s_xor_b64 s[14:15], exec, s[14:15]
; %bb.7:
	v_bfe_u32 v8, v7, 16, 1
	s_movk_i32 s16, 0x7fff
	v_add3_u32 v8, v7, v8, s16
                                        ; implicit-def: $vgpr7
; %bb.8:
	s_andn2_saveexec_b64 s[14:15], s[14:15]
; %bb.9:
	v_mov_b32_e32 v8, 0
	v_or_b32_e32 v9, 0x10000, v7
	v_cmp_eq_u32_sdwa vcc, v7, v8 src0_sel:WORD_0 src1_sel:DWORD
	v_cndmask_b32_e32 v8, v9, v7, vcc
; %bb.10:
	s_or_b64 exec, exec, s[14:15]
	flat_store_short_d16_hi v[5:6], v8
.LBB143_11:
	s_or_b64 exec, exec, s[6:7]
	v_or_b32_e32 v5, 1, v4
	v_cmp_gt_u32_e32 vcc, s12, v5
	s_and_b64 s[14:15], s[4:5], vcc
	s_and_saveexec_b64 s[6:7], s[14:15]
	s_cbranch_execz .LBB143_21
; %bb.12:
	v_mov_b32_e32 v5, 0
	v_lshlrev_b64 v[5:6], 3, v[4:5]
	v_mov_b32_e32 v8, s1
	v_add_co_u32_e32 v7, vcc, s0, v5
	v_addc_co_u32_e32 v8, vcc, v8, v6, vcc
	global_load_dwordx2 v[7:8], v[7:8], off offset:8
	v_mov_b32_e32 v9, s9
	v_add_co_u32_e32 v5, vcc, s8, v5
	v_addc_co_u32_e32 v6, vcc, v9, v6, vcc
	global_load_dwordx2 v[5:6], v[5:6], off offset:8
	s_lshl_b64 s[14:15], s[2:3], 1
	v_mov_b32_e32 v9, s15
	s_lshl_b64 s[16:17], s[10:11], 1
	v_mov_b32_e32 v10, s17
	s_waitcnt vmcnt(0)
	v_add_co_u32_e32 v7, vcc, s14, v7
	v_addc_co_u32_e32 v8, vcc, v8, v9, vcc
	s_mov_b32 s14, 0x7f800000
	v_add_co_u32_e32 v9, vcc, s16, v5
	v_addc_co_u32_e32 v10, vcc, v6, v10, vcc
	v_add_co_u32_e32 v5, vcc, v7, v2
	v_addc_co_u32_e32 v6, vcc, v8, v3, vcc
	flat_load_ushort v8, v[5:6]
	v_add_co_u32_e32 v5, vcc, v9, v0
	v_addc_co_u32_e32 v6, vcc, v10, v1, vcc
	flat_load_ushort v7, v[5:6]
	s_waitcnt vmcnt(0) lgkmcnt(0)
	v_lshlrev_b32_e32 v8, 16, v8
	v_mul_f32_e32 v8, s13, v8
	v_and_b32_e32 v9, 0x7f800000, v8
	v_cmp_ne_u32_e32 vcc, s14, v9
                                        ; implicit-def: $vgpr9
	s_and_saveexec_b64 s[14:15], vcc
	s_xor_b64 s[14:15], exec, s[14:15]
; %bb.13:
	v_bfe_u32 v9, v8, 16, 1
	s_movk_i32 s16, 0x7fff
	v_add3_u32 v9, v8, v9, s16
                                        ; implicit-def: $vgpr8
; %bb.14:
	s_andn2_saveexec_b64 s[14:15], s[14:15]
; %bb.15:
	v_mov_b32_e32 v9, 0
	v_or_b32_e32 v10, 0x10000, v8
	v_cmp_eq_u32_sdwa vcc, v8, v9 src0_sel:WORD_0 src1_sel:DWORD
	v_cndmask_b32_e32 v9, v10, v8, vcc
; %bb.16:
	s_or_b64 exec, exec, s[14:15]
	v_and_b32_e32 v8, 0xffff0000, v9
	v_lshlrev_b32_e32 v7, 16, v7
	v_add_f32_e32 v7, v7, v8
	s_mov_b32 s14, 0x7f800000
	v_and_b32_e32 v8, 0x7f800000, v7
	v_cmp_ne_u32_e32 vcc, s14, v8
                                        ; implicit-def: $vgpr8
	s_and_saveexec_b64 s[14:15], vcc
	s_xor_b64 s[14:15], exec, s[14:15]
; %bb.17:
	v_bfe_u32 v8, v7, 16, 1
	s_movk_i32 s16, 0x7fff
	v_add3_u32 v8, v7, v8, s16
                                        ; implicit-def: $vgpr7
; %bb.18:
	s_andn2_saveexec_b64 s[14:15], s[14:15]
; %bb.19:
	v_mov_b32_e32 v8, 0
	v_or_b32_e32 v9, 0x10000, v7
	v_cmp_eq_u32_sdwa vcc, v7, v8 src0_sel:WORD_0 src1_sel:DWORD
	v_cndmask_b32_e32 v8, v9, v7, vcc
; %bb.20:
	s_or_b64 exec, exec, s[14:15]
	flat_store_short_d16_hi v[5:6], v8
.LBB143_21:
	s_or_b64 exec, exec, s[6:7]
	v_or_b32_e32 v5, 2, v4
	v_cmp_gt_u32_e32 vcc, s12, v5
	s_and_b64 s[14:15], s[4:5], vcc
	s_and_saveexec_b64 s[6:7], s[14:15]
	s_cbranch_execz .LBB143_31
; %bb.22:
	v_mov_b32_e32 v5, 0
	v_lshlrev_b64 v[5:6], 3, v[4:5]
	v_mov_b32_e32 v8, s1
	v_add_co_u32_e32 v7, vcc, s0, v5
	v_addc_co_u32_e32 v8, vcc, v8, v6, vcc
	global_load_dwordx2 v[7:8], v[7:8], off offset:16
	v_mov_b32_e32 v9, s9
	v_add_co_u32_e32 v5, vcc, s8, v5
	v_addc_co_u32_e32 v6, vcc, v9, v6, vcc
	global_load_dwordx2 v[5:6], v[5:6], off offset:16
	s_lshl_b64 s[14:15], s[2:3], 1
	v_mov_b32_e32 v9, s15
	s_lshl_b64 s[16:17], s[10:11], 1
	v_mov_b32_e32 v10, s17
	s_waitcnt vmcnt(0)
	v_add_co_u32_e32 v7, vcc, s14, v7
	v_addc_co_u32_e32 v8, vcc, v8, v9, vcc
	s_mov_b32 s14, 0x7f800000
	v_add_co_u32_e32 v9, vcc, s16, v5
	v_addc_co_u32_e32 v10, vcc, v6, v10, vcc
	v_add_co_u32_e32 v5, vcc, v7, v2
	v_addc_co_u32_e32 v6, vcc, v8, v3, vcc
	flat_load_ushort v8, v[5:6]
	v_add_co_u32_e32 v5, vcc, v9, v0
	v_addc_co_u32_e32 v6, vcc, v10, v1, vcc
	flat_load_ushort v7, v[5:6]
	s_waitcnt vmcnt(0) lgkmcnt(0)
	v_lshlrev_b32_e32 v8, 16, v8
	v_mul_f32_e32 v8, s13, v8
	v_and_b32_e32 v9, 0x7f800000, v8
	v_cmp_ne_u32_e32 vcc, s14, v9
                                        ; implicit-def: $vgpr9
	s_and_saveexec_b64 s[14:15], vcc
	s_xor_b64 s[14:15], exec, s[14:15]
; %bb.23:
	v_bfe_u32 v9, v8, 16, 1
	s_movk_i32 s16, 0x7fff
	v_add3_u32 v9, v8, v9, s16
                                        ; implicit-def: $vgpr8
; %bb.24:
	s_andn2_saveexec_b64 s[14:15], s[14:15]
; %bb.25:
	v_mov_b32_e32 v9, 0
	v_or_b32_e32 v10, 0x10000, v8
	v_cmp_eq_u32_sdwa vcc, v8, v9 src0_sel:WORD_0 src1_sel:DWORD
	v_cndmask_b32_e32 v9, v10, v8, vcc
; %bb.26:
	s_or_b64 exec, exec, s[14:15]
	v_and_b32_e32 v8, 0xffff0000, v9
	v_lshlrev_b32_e32 v7, 16, v7
	v_add_f32_e32 v7, v7, v8
	s_mov_b32 s14, 0x7f800000
	v_and_b32_e32 v8, 0x7f800000, v7
	v_cmp_ne_u32_e32 vcc, s14, v8
                                        ; implicit-def: $vgpr8
	s_and_saveexec_b64 s[14:15], vcc
	s_xor_b64 s[14:15], exec, s[14:15]
; %bb.27:
	v_bfe_u32 v8, v7, 16, 1
	s_movk_i32 s16, 0x7fff
	v_add3_u32 v8, v7, v8, s16
                                        ; implicit-def: $vgpr7
; %bb.28:
	s_andn2_saveexec_b64 s[14:15], s[14:15]
; %bb.29:
	v_mov_b32_e32 v8, 0
	v_or_b32_e32 v9, 0x10000, v7
	v_cmp_eq_u32_sdwa vcc, v7, v8 src0_sel:WORD_0 src1_sel:DWORD
	v_cndmask_b32_e32 v8, v9, v7, vcc
; %bb.30:
	s_or_b64 exec, exec, s[14:15]
	flat_store_short_d16_hi v[5:6], v8
.LBB143_31:
	s_or_b64 exec, exec, s[6:7]
	v_or_b32_e32 v5, 3, v4
	v_cmp_gt_u32_e32 vcc, s12, v5
	s_and_b64 s[4:5], s[4:5], vcc
	s_and_b64 exec, exec, s[4:5]
	s_cbranch_execz .LBB143_41
; %bb.32:
	v_mov_b32_e32 v5, 0
	v_lshlrev_b64 v[4:5], 3, v[4:5]
	v_mov_b32_e32 v7, s1
	v_add_co_u32_e32 v6, vcc, s0, v4
	v_addc_co_u32_e32 v7, vcc, v7, v5, vcc
	global_load_dwordx2 v[6:7], v[6:7], off offset:24
	v_mov_b32_e32 v8, s9
	v_add_co_u32_e32 v4, vcc, s8, v4
	v_addc_co_u32_e32 v5, vcc, v8, v5, vcc
	global_load_dwordx2 v[4:5], v[4:5], off offset:24
	s_lshl_b64 s[0:1], s[2:3], 1
	v_mov_b32_e32 v8, s1
	s_lshl_b64 s[2:3], s[10:11], 1
	v_mov_b32_e32 v9, s3
	s_waitcnt vmcnt(0)
	v_add_co_u32_e32 v6, vcc, s0, v6
	v_addc_co_u32_e32 v7, vcc, v7, v8, vcc
	s_mov_b32 s0, 0x7f800000
	v_add_co_u32_e32 v4, vcc, s2, v4
	v_addc_co_u32_e32 v5, vcc, v5, v9, vcc
	v_add_co_u32_e32 v2, vcc, v6, v2
	v_addc_co_u32_e32 v3, vcc, v7, v3, vcc
	flat_load_ushort v3, v[2:3]
	v_add_co_u32_e32 v0, vcc, v4, v0
	v_addc_co_u32_e32 v1, vcc, v5, v1, vcc
	flat_load_ushort v2, v[0:1]
	s_waitcnt vmcnt(0) lgkmcnt(0)
	v_lshlrev_b32_e32 v3, 16, v3
	v_mul_f32_e32 v3, s13, v3
	v_and_b32_e32 v4, 0x7f800000, v3
	v_cmp_ne_u32_e32 vcc, s0, v4
                                        ; implicit-def: $vgpr4
	s_and_saveexec_b64 s[0:1], vcc
	s_xor_b64 s[0:1], exec, s[0:1]
; %bb.33:
	v_bfe_u32 v4, v3, 16, 1
	s_movk_i32 s2, 0x7fff
	v_add3_u32 v4, v3, v4, s2
                                        ; implicit-def: $vgpr3
; %bb.34:
	s_andn2_saveexec_b64 s[0:1], s[0:1]
; %bb.35:
	v_mov_b32_e32 v4, 0
	v_or_b32_e32 v5, 0x10000, v3
	v_cmp_eq_u32_sdwa vcc, v3, v4 src0_sel:WORD_0 src1_sel:DWORD
	v_cndmask_b32_e32 v4, v5, v3, vcc
; %bb.36:
	s_or_b64 exec, exec, s[0:1]
	v_and_b32_e32 v3, 0xffff0000, v4
	v_lshlrev_b32_e32 v2, 16, v2
	v_add_f32_e32 v2, v2, v3
	s_mov_b32 s0, 0x7f800000
	v_and_b32_e32 v3, 0x7f800000, v2
	v_cmp_ne_u32_e32 vcc, s0, v3
                                        ; implicit-def: $vgpr3
	s_and_saveexec_b64 s[0:1], vcc
	s_xor_b64 s[0:1], exec, s[0:1]
; %bb.37:
	v_bfe_u32 v3, v2, 16, 1
	s_movk_i32 s2, 0x7fff
	v_add3_u32 v3, v2, v3, s2
                                        ; implicit-def: $vgpr2
; %bb.38:
	s_andn2_saveexec_b64 s[0:1], s[0:1]
; %bb.39:
	v_mov_b32_e32 v3, 0
	v_or_b32_e32 v4, 0x10000, v2
	v_cmp_eq_u32_sdwa vcc, v2, v3 src0_sel:WORD_0 src1_sel:DWORD
	v_cndmask_b32_e32 v3, v4, v2, vcc
; %bb.40:
	s_or_b64 exec, exec, s[0:1]
	flat_store_short_d16_hi v[0:1], v3
.LBB143_41:
	s_endpgm
	.section	.rodata,"a",@progbits
	.p2align	6, 0x0
	.amdhsa_kernel _ZL27rocblas_axpy_kernel_batchedIiLi128ELi8EffPKPK16rocblas_bfloat16PKPS0_EviT3_lT4_lT_lT5_lSA_li
		.amdhsa_group_segment_fixed_size 0
		.amdhsa_private_segment_fixed_size 0
		.amdhsa_kernarg_size 84
		.amdhsa_user_sgpr_count 6
		.amdhsa_user_sgpr_private_segment_buffer 1
		.amdhsa_user_sgpr_dispatch_ptr 0
		.amdhsa_user_sgpr_queue_ptr 0
		.amdhsa_user_sgpr_kernarg_segment_ptr 1
		.amdhsa_user_sgpr_dispatch_id 0
		.amdhsa_user_sgpr_flat_scratch_init 0
		.amdhsa_user_sgpr_private_segment_size 0
		.amdhsa_uses_dynamic_stack 0
		.amdhsa_system_sgpr_private_segment_wavefront_offset 0
		.amdhsa_system_sgpr_workgroup_id_x 1
		.amdhsa_system_sgpr_workgroup_id_y 0
		.amdhsa_system_sgpr_workgroup_id_z 1
		.amdhsa_system_sgpr_workgroup_info 0
		.amdhsa_system_vgpr_workitem_id 1
		.amdhsa_next_free_vgpr 11
		.amdhsa_next_free_sgpr 18
		.amdhsa_reserve_vcc 1
		.amdhsa_reserve_flat_scratch 0
		.amdhsa_float_round_mode_32 0
		.amdhsa_float_round_mode_16_64 0
		.amdhsa_float_denorm_mode_32 3
		.amdhsa_float_denorm_mode_16_64 3
		.amdhsa_dx10_clamp 1
		.amdhsa_ieee_mode 1
		.amdhsa_fp16_overflow 0
		.amdhsa_exception_fp_ieee_invalid_op 0
		.amdhsa_exception_fp_denorm_src 0
		.amdhsa_exception_fp_ieee_div_zero 0
		.amdhsa_exception_fp_ieee_overflow 0
		.amdhsa_exception_fp_ieee_underflow 0
		.amdhsa_exception_fp_ieee_inexact 0
		.amdhsa_exception_int_div_zero 0
	.end_amdhsa_kernel
	.section	.text._ZL27rocblas_axpy_kernel_batchedIiLi128ELi8EffPKPK16rocblas_bfloat16PKPS0_EviT3_lT4_lT_lT5_lSA_li,"axG",@progbits,_ZL27rocblas_axpy_kernel_batchedIiLi128ELi8EffPKPK16rocblas_bfloat16PKPS0_EviT3_lT4_lT_lT5_lSA_li,comdat
.Lfunc_end143:
	.size	_ZL27rocblas_axpy_kernel_batchedIiLi128ELi8EffPKPK16rocblas_bfloat16PKPS0_EviT3_lT4_lT_lT5_lSA_li, .Lfunc_end143-_ZL27rocblas_axpy_kernel_batchedIiLi128ELi8EffPKPK16rocblas_bfloat16PKPS0_EviT3_lT4_lT_lT5_lSA_li
                                        ; -- End function
	.set _ZL27rocblas_axpy_kernel_batchedIiLi128ELi8EffPKPK16rocblas_bfloat16PKPS0_EviT3_lT4_lT_lT5_lSA_li.num_vgpr, 11
	.set _ZL27rocblas_axpy_kernel_batchedIiLi128ELi8EffPKPK16rocblas_bfloat16PKPS0_EviT3_lT4_lT_lT5_lSA_li.num_agpr, 0
	.set _ZL27rocblas_axpy_kernel_batchedIiLi128ELi8EffPKPK16rocblas_bfloat16PKPS0_EviT3_lT4_lT_lT5_lSA_li.numbered_sgpr, 18
	.set _ZL27rocblas_axpy_kernel_batchedIiLi128ELi8EffPKPK16rocblas_bfloat16PKPS0_EviT3_lT4_lT_lT5_lSA_li.num_named_barrier, 0
	.set _ZL27rocblas_axpy_kernel_batchedIiLi128ELi8EffPKPK16rocblas_bfloat16PKPS0_EviT3_lT4_lT_lT5_lSA_li.private_seg_size, 0
	.set _ZL27rocblas_axpy_kernel_batchedIiLi128ELi8EffPKPK16rocblas_bfloat16PKPS0_EviT3_lT4_lT_lT5_lSA_li.uses_vcc, 1
	.set _ZL27rocblas_axpy_kernel_batchedIiLi128ELi8EffPKPK16rocblas_bfloat16PKPS0_EviT3_lT4_lT_lT5_lSA_li.uses_flat_scratch, 0
	.set _ZL27rocblas_axpy_kernel_batchedIiLi128ELi8EffPKPK16rocblas_bfloat16PKPS0_EviT3_lT4_lT_lT5_lSA_li.has_dyn_sized_stack, 0
	.set _ZL27rocblas_axpy_kernel_batchedIiLi128ELi8EffPKPK16rocblas_bfloat16PKPS0_EviT3_lT4_lT_lT5_lSA_li.has_recursion, 0
	.set _ZL27rocblas_axpy_kernel_batchedIiLi128ELi8EffPKPK16rocblas_bfloat16PKPS0_EviT3_lT4_lT_lT5_lSA_li.has_indirect_call, 0
	.section	.AMDGPU.csdata,"",@progbits
; Kernel info:
; codeLenInByte = 1536
; TotalNumSgprs: 22
; NumVgprs: 11
; ScratchSize: 0
; MemoryBound: 0
; FloatMode: 240
; IeeeMode: 1
; LDSByteSize: 0 bytes/workgroup (compile time only)
; SGPRBlocks: 2
; VGPRBlocks: 2
; NumSGPRsForWavesPerEU: 22
; NumVGPRsForWavesPerEU: 11
; Occupancy: 10
; WaveLimiterHint : 1
; COMPUTE_PGM_RSRC2:SCRATCH_EN: 0
; COMPUTE_PGM_RSRC2:USER_SGPR: 6
; COMPUTE_PGM_RSRC2:TRAP_HANDLER: 0
; COMPUTE_PGM_RSRC2:TGID_X_EN: 1
; COMPUTE_PGM_RSRC2:TGID_Y_EN: 0
; COMPUTE_PGM_RSRC2:TGID_Z_EN: 1
; COMPUTE_PGM_RSRC2:TIDIG_COMP_CNT: 1
	.section	.text._ZL19rocblas_axpy_kernelIiLi256EfPKfPKPK16rocblas_bfloat16PKPS2_EviT2_lT3_lT_lT4_lSC_li,"axG",@progbits,_ZL19rocblas_axpy_kernelIiLi256EfPKfPKPK16rocblas_bfloat16PKPS2_EviT2_lT3_lT_lT4_lSC_li,comdat
	.globl	_ZL19rocblas_axpy_kernelIiLi256EfPKfPKPK16rocblas_bfloat16PKPS2_EviT2_lT3_lT_lT4_lSC_li ; -- Begin function _ZL19rocblas_axpy_kernelIiLi256EfPKfPKPK16rocblas_bfloat16PKPS2_EviT2_lT3_lT_lT4_lSC_li
	.p2align	8
	.type	_ZL19rocblas_axpy_kernelIiLi256EfPKfPKPK16rocblas_bfloat16PKPS2_EviT2_lT3_lT_lT4_lSC_li,@function
_ZL19rocblas_axpy_kernelIiLi256EfPKfPKPK16rocblas_bfloat16PKPS2_EviT2_lT3_lT_lT4_lSC_li: ; @_ZL19rocblas_axpy_kernelIiLi256EfPKfPKPK16rocblas_bfloat16PKPS2_EviT2_lT3_lT_lT4_lSC_li
; %bb.0:
	s_load_dword s12, s[4:5], 0x0
	s_load_dwordx4 s[8:11], s[4:5], 0x8
	v_lshl_or_b32 v0, s6, 8, v0
	v_mov_b32_e32 v1, 0
	s_mov_b32 s0, s7
	s_waitcnt lgkmcnt(0)
	s_ashr_i32 s13, s12, 31
	s_mul_i32 s1, s11, s7
	s_mul_hi_u32 s2, s10, s7
	s_add_i32 s3, s2, s1
	s_mul_i32 s2, s10, s7
	s_lshl_b64 s[2:3], s[2:3], 2
	s_add_u32 s2, s8, s2
	s_addc_u32 s3, s9, s3
	s_load_dword s2, s[2:3], 0x0
	v_cmp_gt_i64_e32 vcc, s[12:13], v[0:1]
	s_waitcnt lgkmcnt(0)
	v_cmp_neq_f32_e64 s[6:7], s2, 0
	s_and_b64 s[6:7], vcc, s[6:7]
	s_and_saveexec_b64 s[8:9], s[6:7]
	s_cbranch_execz .LBB144_10
; %bb.1:
	s_load_dword s3, s[4:5], 0x28
	s_load_dwordx4 s[8:11], s[4:5], 0x18
	s_load_dword s16, s[4:5], 0x48
	s_mov_b32 s1, 0
	s_lshl_b64 s[0:1], s[0:1], 3
	s_waitcnt lgkmcnt(0)
	v_mad_u64_u32 v[1:2], s[6:7], s3, v0, 0
	s_ashr_i32 s3, s3, 31
	s_ashr_i32 s17, s16, 31
	v_mad_u64_u32 v[2:3], s[6:7], s3, v0, v[2:3]
	s_add_u32 s6, s8, s0
	s_addc_u32 s7, s9, s1
	s_load_dwordx2 s[8:9], s[6:7], 0x0
	s_load_dwordx4 s[12:15], s[4:5], 0x38
	s_lshl_b64 s[4:5], s[10:11], 1
	v_mad_u64_u32 v[3:4], s[6:7], s16, v0, 0
	s_waitcnt lgkmcnt(0)
	s_add_u32 s3, s8, s4
	s_addc_u32 s4, s9, s5
	s_add_u32 s0, s12, s0
	s_addc_u32 s1, s13, s1
	s_load_dwordx2 s[0:1], s[0:1], 0x0
	v_lshlrev_b64 v[1:2], 1, v[1:2]
	v_mov_b32_e32 v6, s4
	v_mad_u64_u32 v[4:5], s[4:5], s17, v0, v[4:5]
	v_add_co_u32_e32 v0, vcc, s3, v1
	v_addc_co_u32_e32 v1, vcc, v6, v2, vcc
	s_lshl_b64 s[4:5], s[14:15], 1
	s_waitcnt lgkmcnt(0)
	s_add_u32 s0, s0, s4
	v_lshlrev_b64 v[2:3], 1, v[3:4]
	flat_load_ushort v5, v[0:1]
	s_addc_u32 s1, s1, s5
	v_mov_b32_e32 v4, s1
	v_add_co_u32_e32 v0, vcc, s0, v2
	v_addc_co_u32_e32 v1, vcc, v4, v3, vcc
	flat_load_ushort v2, v[0:1]
	s_mov_b32 s0, 0x7f800000
	s_waitcnt vmcnt(0) lgkmcnt(0)
	v_lshlrev_b32_e32 v3, 16, v5
	v_mul_f32_e32 v3, s2, v3
	v_and_b32_e32 v4, 0x7f800000, v3
	v_cmp_ne_u32_e32 vcc, s0, v4
                                        ; implicit-def: $vgpr4
	s_and_saveexec_b64 s[0:1], vcc
	s_xor_b64 s[0:1], exec, s[0:1]
; %bb.2:
	v_bfe_u32 v4, v3, 16, 1
	s_movk_i32 s2, 0x7fff
	v_add3_u32 v4, v3, v4, s2
                                        ; implicit-def: $vgpr3
; %bb.3:
	s_andn2_saveexec_b64 s[0:1], s[0:1]
; %bb.4:
	v_mov_b32_e32 v4, 0
	v_or_b32_e32 v5, 0x10000, v3
	v_cmp_eq_u32_sdwa vcc, v3, v4 src0_sel:WORD_0 src1_sel:DWORD
	v_cndmask_b32_e32 v4, v5, v3, vcc
; %bb.5:
	s_or_b64 exec, exec, s[0:1]
	v_and_b32_e32 v3, 0xffff0000, v4
	v_lshlrev_b32_e32 v2, 16, v2
	v_add_f32_e32 v2, v2, v3
	s_mov_b32 s0, 0x7f800000
	v_and_b32_e32 v3, 0x7f800000, v2
	v_cmp_ne_u32_e32 vcc, s0, v3
                                        ; implicit-def: $vgpr3
	s_and_saveexec_b64 s[0:1], vcc
	s_xor_b64 s[0:1], exec, s[0:1]
; %bb.6:
	v_bfe_u32 v3, v2, 16, 1
	s_movk_i32 s2, 0x7fff
	v_add3_u32 v3, v2, v3, s2
                                        ; implicit-def: $vgpr2
; %bb.7:
	s_andn2_saveexec_b64 s[0:1], s[0:1]
; %bb.8:
	v_mov_b32_e32 v3, 0
	v_or_b32_e32 v4, 0x10000, v2
	v_cmp_eq_u32_sdwa vcc, v2, v3 src0_sel:WORD_0 src1_sel:DWORD
	v_cndmask_b32_e32 v3, v4, v2, vcc
; %bb.9:
	s_or_b64 exec, exec, s[0:1]
	flat_store_short_d16_hi v[0:1], v3
.LBB144_10:
	s_endpgm
	.section	.rodata,"a",@progbits
	.p2align	6, 0x0
	.amdhsa_kernel _ZL19rocblas_axpy_kernelIiLi256EfPKfPKPK16rocblas_bfloat16PKPS2_EviT2_lT3_lT_lT4_lSC_li
		.amdhsa_group_segment_fixed_size 0
		.amdhsa_private_segment_fixed_size 0
		.amdhsa_kernarg_size 92
		.amdhsa_user_sgpr_count 6
		.amdhsa_user_sgpr_private_segment_buffer 1
		.amdhsa_user_sgpr_dispatch_ptr 0
		.amdhsa_user_sgpr_queue_ptr 0
		.amdhsa_user_sgpr_kernarg_segment_ptr 1
		.amdhsa_user_sgpr_dispatch_id 0
		.amdhsa_user_sgpr_flat_scratch_init 0
		.amdhsa_user_sgpr_private_segment_size 0
		.amdhsa_uses_dynamic_stack 0
		.amdhsa_system_sgpr_private_segment_wavefront_offset 0
		.amdhsa_system_sgpr_workgroup_id_x 1
		.amdhsa_system_sgpr_workgroup_id_y 0
		.amdhsa_system_sgpr_workgroup_id_z 1
		.amdhsa_system_sgpr_workgroup_info 0
		.amdhsa_system_vgpr_workitem_id 0
		.amdhsa_next_free_vgpr 7
		.amdhsa_next_free_sgpr 18
		.amdhsa_reserve_vcc 1
		.amdhsa_reserve_flat_scratch 0
		.amdhsa_float_round_mode_32 0
		.amdhsa_float_round_mode_16_64 0
		.amdhsa_float_denorm_mode_32 3
		.amdhsa_float_denorm_mode_16_64 3
		.amdhsa_dx10_clamp 1
		.amdhsa_ieee_mode 1
		.amdhsa_fp16_overflow 0
		.amdhsa_exception_fp_ieee_invalid_op 0
		.amdhsa_exception_fp_denorm_src 0
		.amdhsa_exception_fp_ieee_div_zero 0
		.amdhsa_exception_fp_ieee_overflow 0
		.amdhsa_exception_fp_ieee_underflow 0
		.amdhsa_exception_fp_ieee_inexact 0
		.amdhsa_exception_int_div_zero 0
	.end_amdhsa_kernel
	.section	.text._ZL19rocblas_axpy_kernelIiLi256EfPKfPKPK16rocblas_bfloat16PKPS2_EviT2_lT3_lT_lT4_lSC_li,"axG",@progbits,_ZL19rocblas_axpy_kernelIiLi256EfPKfPKPK16rocblas_bfloat16PKPS2_EviT2_lT3_lT_lT4_lSC_li,comdat
.Lfunc_end144:
	.size	_ZL19rocblas_axpy_kernelIiLi256EfPKfPKPK16rocblas_bfloat16PKPS2_EviT2_lT3_lT_lT4_lSC_li, .Lfunc_end144-_ZL19rocblas_axpy_kernelIiLi256EfPKfPKPK16rocblas_bfloat16PKPS2_EviT2_lT3_lT_lT4_lSC_li
                                        ; -- End function
	.set _ZL19rocblas_axpy_kernelIiLi256EfPKfPKPK16rocblas_bfloat16PKPS2_EviT2_lT3_lT_lT4_lSC_li.num_vgpr, 7
	.set _ZL19rocblas_axpy_kernelIiLi256EfPKfPKPK16rocblas_bfloat16PKPS2_EviT2_lT3_lT_lT4_lSC_li.num_agpr, 0
	.set _ZL19rocblas_axpy_kernelIiLi256EfPKfPKPK16rocblas_bfloat16PKPS2_EviT2_lT3_lT_lT4_lSC_li.numbered_sgpr, 18
	.set _ZL19rocblas_axpy_kernelIiLi256EfPKfPKPK16rocblas_bfloat16PKPS2_EviT2_lT3_lT_lT4_lSC_li.num_named_barrier, 0
	.set _ZL19rocblas_axpy_kernelIiLi256EfPKfPKPK16rocblas_bfloat16PKPS2_EviT2_lT3_lT_lT4_lSC_li.private_seg_size, 0
	.set _ZL19rocblas_axpy_kernelIiLi256EfPKfPKPK16rocblas_bfloat16PKPS2_EviT2_lT3_lT_lT4_lSC_li.uses_vcc, 1
	.set _ZL19rocblas_axpy_kernelIiLi256EfPKfPKPK16rocblas_bfloat16PKPS2_EviT2_lT3_lT_lT4_lSC_li.uses_flat_scratch, 0
	.set _ZL19rocblas_axpy_kernelIiLi256EfPKfPKPK16rocblas_bfloat16PKPS2_EviT2_lT3_lT_lT4_lSC_li.has_dyn_sized_stack, 0
	.set _ZL19rocblas_axpy_kernelIiLi256EfPKfPKPK16rocblas_bfloat16PKPS2_EviT2_lT3_lT_lT4_lSC_li.has_recursion, 0
	.set _ZL19rocblas_axpy_kernelIiLi256EfPKfPKPK16rocblas_bfloat16PKPS2_EviT2_lT3_lT_lT4_lSC_li.has_indirect_call, 0
	.section	.AMDGPU.csdata,"",@progbits
; Kernel info:
; codeLenInByte = 508
; TotalNumSgprs: 22
; NumVgprs: 7
; ScratchSize: 0
; MemoryBound: 0
; FloatMode: 240
; IeeeMode: 1
; LDSByteSize: 0 bytes/workgroup (compile time only)
; SGPRBlocks: 2
; VGPRBlocks: 1
; NumSGPRsForWavesPerEU: 22
; NumVGPRsForWavesPerEU: 7
; Occupancy: 10
; WaveLimiterHint : 1
; COMPUTE_PGM_RSRC2:SCRATCH_EN: 0
; COMPUTE_PGM_RSRC2:USER_SGPR: 6
; COMPUTE_PGM_RSRC2:TRAP_HANDLER: 0
; COMPUTE_PGM_RSRC2:TGID_X_EN: 1
; COMPUTE_PGM_RSRC2:TGID_Y_EN: 0
; COMPUTE_PGM_RSRC2:TGID_Z_EN: 1
; COMPUTE_PGM_RSRC2:TIDIG_COMP_CNT: 0
	.section	.text._ZL19rocblas_axpy_kernelIiLi256EffPKPK16rocblas_bfloat16PKPS0_EviT2_lT3_lT_lT4_lSA_li,"axG",@progbits,_ZL19rocblas_axpy_kernelIiLi256EffPKPK16rocblas_bfloat16PKPS0_EviT2_lT3_lT_lT4_lSA_li,comdat
	.globl	_ZL19rocblas_axpy_kernelIiLi256EffPKPK16rocblas_bfloat16PKPS0_EviT2_lT3_lT_lT4_lSA_li ; -- Begin function _ZL19rocblas_axpy_kernelIiLi256EffPKPK16rocblas_bfloat16PKPS0_EviT2_lT3_lT_lT4_lSA_li
	.p2align	8
	.type	_ZL19rocblas_axpy_kernelIiLi256EffPKPK16rocblas_bfloat16PKPS0_EviT2_lT3_lT_lT4_lSA_li,@function
_ZL19rocblas_axpy_kernelIiLi256EffPKPK16rocblas_bfloat16PKPS0_EviT2_lT3_lT_lT4_lSA_li: ; @_ZL19rocblas_axpy_kernelIiLi256EffPKPK16rocblas_bfloat16PKPS0_EviT2_lT3_lT_lT4_lSA_li
; %bb.0:
	s_load_dwordx2 s[0:1], s[4:5], 0x0
	s_mov_b32 s2, s7
	v_lshl_or_b32 v0, s6, 8, v0
	v_mov_b32_e32 v1, 0
	s_mov_b32 s3, 0
	s_waitcnt lgkmcnt(0)
	s_ashr_i32 s7, s0, 31
	s_mov_b32 s6, s0
	v_cmp_gt_i64_e32 vcc, s[6:7], v[0:1]
	v_cmp_neq_f32_e64 s[6:7], s1, 0
	s_and_b64 s[6:7], s[6:7], vcc
	s_and_saveexec_b64 s[8:9], s[6:7]
	s_cbranch_execz .LBB145_10
; %bb.1:
	s_load_dword s0, s[4:5], 0x20
	s_load_dwordx4 s[8:11], s[4:5], 0x10
	s_load_dword s16, s[4:5], 0x40
	s_lshl_b64 s[2:3], s[2:3], 3
	s_waitcnt lgkmcnt(0)
	v_mad_u64_u32 v[1:2], s[6:7], s0, v0, 0
	s_ashr_i32 s0, s0, 31
	s_ashr_i32 s17, s16, 31
	v_mad_u64_u32 v[2:3], s[6:7], s0, v0, v[2:3]
	s_add_u32 s6, s8, s2
	s_addc_u32 s7, s9, s3
	s_load_dwordx2 s[8:9], s[6:7], 0x0
	s_load_dwordx4 s[12:15], s[4:5], 0x30
	s_lshl_b64 s[4:5], s[10:11], 1
	v_mad_u64_u32 v[3:4], s[6:7], s16, v0, 0
	s_waitcnt lgkmcnt(0)
	s_add_u32 s0, s8, s4
	s_addc_u32 s4, s9, s5
	s_add_u32 s2, s12, s2
	s_addc_u32 s3, s13, s3
	s_load_dwordx2 s[2:3], s[2:3], 0x0
	v_lshlrev_b64 v[1:2], 1, v[1:2]
	v_mov_b32_e32 v6, s4
	v_mad_u64_u32 v[4:5], s[4:5], s17, v0, v[4:5]
	v_add_co_u32_e32 v0, vcc, s0, v1
	v_addc_co_u32_e32 v1, vcc, v6, v2, vcc
	s_lshl_b64 s[4:5], s[14:15], 1
	s_waitcnt lgkmcnt(0)
	s_add_u32 s0, s2, s4
	v_lshlrev_b64 v[2:3], 1, v[3:4]
	flat_load_ushort v5, v[0:1]
	s_addc_u32 s2, s3, s5
	v_mov_b32_e32 v4, s2
	v_add_co_u32_e32 v0, vcc, s0, v2
	v_addc_co_u32_e32 v1, vcc, v4, v3, vcc
	flat_load_ushort v2, v[0:1]
	s_mov_b32 s0, 0x7f800000
	s_waitcnt vmcnt(0) lgkmcnt(0)
	v_lshlrev_b32_e32 v3, 16, v5
	v_mul_f32_e32 v3, s1, v3
	v_and_b32_e32 v4, 0x7f800000, v3
	v_cmp_ne_u32_e32 vcc, s0, v4
                                        ; implicit-def: $vgpr4
	s_and_saveexec_b64 s[0:1], vcc
	s_xor_b64 s[0:1], exec, s[0:1]
; %bb.2:
	v_bfe_u32 v4, v3, 16, 1
	s_movk_i32 s2, 0x7fff
	v_add3_u32 v4, v3, v4, s2
                                        ; implicit-def: $vgpr3
; %bb.3:
	s_andn2_saveexec_b64 s[0:1], s[0:1]
; %bb.4:
	v_mov_b32_e32 v4, 0
	v_or_b32_e32 v5, 0x10000, v3
	v_cmp_eq_u32_sdwa vcc, v3, v4 src0_sel:WORD_0 src1_sel:DWORD
	v_cndmask_b32_e32 v4, v5, v3, vcc
; %bb.5:
	s_or_b64 exec, exec, s[0:1]
	v_and_b32_e32 v3, 0xffff0000, v4
	v_lshlrev_b32_e32 v2, 16, v2
	v_add_f32_e32 v2, v2, v3
	s_mov_b32 s0, 0x7f800000
	v_and_b32_e32 v3, 0x7f800000, v2
	v_cmp_ne_u32_e32 vcc, s0, v3
                                        ; implicit-def: $vgpr3
	s_and_saveexec_b64 s[0:1], vcc
	s_xor_b64 s[0:1], exec, s[0:1]
; %bb.6:
	v_bfe_u32 v3, v2, 16, 1
	s_movk_i32 s2, 0x7fff
	v_add3_u32 v3, v2, v3, s2
                                        ; implicit-def: $vgpr2
; %bb.7:
	s_andn2_saveexec_b64 s[0:1], s[0:1]
; %bb.8:
	v_mov_b32_e32 v3, 0
	v_or_b32_e32 v4, 0x10000, v2
	v_cmp_eq_u32_sdwa vcc, v2, v3 src0_sel:WORD_0 src1_sel:DWORD
	v_cndmask_b32_e32 v3, v4, v2, vcc
; %bb.9:
	s_or_b64 exec, exec, s[0:1]
	flat_store_short_d16_hi v[0:1], v3
.LBB145_10:
	s_endpgm
	.section	.rodata,"a",@progbits
	.p2align	6, 0x0
	.amdhsa_kernel _ZL19rocblas_axpy_kernelIiLi256EffPKPK16rocblas_bfloat16PKPS0_EviT2_lT3_lT_lT4_lSA_li
		.amdhsa_group_segment_fixed_size 0
		.amdhsa_private_segment_fixed_size 0
		.amdhsa_kernarg_size 84
		.amdhsa_user_sgpr_count 6
		.amdhsa_user_sgpr_private_segment_buffer 1
		.amdhsa_user_sgpr_dispatch_ptr 0
		.amdhsa_user_sgpr_queue_ptr 0
		.amdhsa_user_sgpr_kernarg_segment_ptr 1
		.amdhsa_user_sgpr_dispatch_id 0
		.amdhsa_user_sgpr_flat_scratch_init 0
		.amdhsa_user_sgpr_private_segment_size 0
		.amdhsa_uses_dynamic_stack 0
		.amdhsa_system_sgpr_private_segment_wavefront_offset 0
		.amdhsa_system_sgpr_workgroup_id_x 1
		.amdhsa_system_sgpr_workgroup_id_y 0
		.amdhsa_system_sgpr_workgroup_id_z 1
		.amdhsa_system_sgpr_workgroup_info 0
		.amdhsa_system_vgpr_workitem_id 0
		.amdhsa_next_free_vgpr 7
		.amdhsa_next_free_sgpr 18
		.amdhsa_reserve_vcc 1
		.amdhsa_reserve_flat_scratch 0
		.amdhsa_float_round_mode_32 0
		.amdhsa_float_round_mode_16_64 0
		.amdhsa_float_denorm_mode_32 3
		.amdhsa_float_denorm_mode_16_64 3
		.amdhsa_dx10_clamp 1
		.amdhsa_ieee_mode 1
		.amdhsa_fp16_overflow 0
		.amdhsa_exception_fp_ieee_invalid_op 0
		.amdhsa_exception_fp_denorm_src 0
		.amdhsa_exception_fp_ieee_div_zero 0
		.amdhsa_exception_fp_ieee_overflow 0
		.amdhsa_exception_fp_ieee_underflow 0
		.amdhsa_exception_fp_ieee_inexact 0
		.amdhsa_exception_int_div_zero 0
	.end_amdhsa_kernel
	.section	.text._ZL19rocblas_axpy_kernelIiLi256EffPKPK16rocblas_bfloat16PKPS0_EviT2_lT3_lT_lT4_lSA_li,"axG",@progbits,_ZL19rocblas_axpy_kernelIiLi256EffPKPK16rocblas_bfloat16PKPS0_EviT2_lT3_lT_lT4_lSA_li,comdat
.Lfunc_end145:
	.size	_ZL19rocblas_axpy_kernelIiLi256EffPKPK16rocblas_bfloat16PKPS0_EviT2_lT3_lT_lT4_lSA_li, .Lfunc_end145-_ZL19rocblas_axpy_kernelIiLi256EffPKPK16rocblas_bfloat16PKPS0_EviT2_lT3_lT_lT4_lSA_li
                                        ; -- End function
	.set _ZL19rocblas_axpy_kernelIiLi256EffPKPK16rocblas_bfloat16PKPS0_EviT2_lT3_lT_lT4_lSA_li.num_vgpr, 7
	.set _ZL19rocblas_axpy_kernelIiLi256EffPKPK16rocblas_bfloat16PKPS0_EviT2_lT3_lT_lT4_lSA_li.num_agpr, 0
	.set _ZL19rocblas_axpy_kernelIiLi256EffPKPK16rocblas_bfloat16PKPS0_EviT2_lT3_lT_lT4_lSA_li.numbered_sgpr, 18
	.set _ZL19rocblas_axpy_kernelIiLi256EffPKPK16rocblas_bfloat16PKPS0_EviT2_lT3_lT_lT4_lSA_li.num_named_barrier, 0
	.set _ZL19rocblas_axpy_kernelIiLi256EffPKPK16rocblas_bfloat16PKPS0_EviT2_lT3_lT_lT4_lSA_li.private_seg_size, 0
	.set _ZL19rocblas_axpy_kernelIiLi256EffPKPK16rocblas_bfloat16PKPS0_EviT2_lT3_lT_lT4_lSA_li.uses_vcc, 1
	.set _ZL19rocblas_axpy_kernelIiLi256EffPKPK16rocblas_bfloat16PKPS0_EviT2_lT3_lT_lT4_lSA_li.uses_flat_scratch, 0
	.set _ZL19rocblas_axpy_kernelIiLi256EffPKPK16rocblas_bfloat16PKPS0_EviT2_lT3_lT_lT4_lSA_li.has_dyn_sized_stack, 0
	.set _ZL19rocblas_axpy_kernelIiLi256EffPKPK16rocblas_bfloat16PKPS0_EviT2_lT3_lT_lT4_lSA_li.has_recursion, 0
	.set _ZL19rocblas_axpy_kernelIiLi256EffPKPK16rocblas_bfloat16PKPS0_EviT2_lT3_lT_lT4_lSA_li.has_indirect_call, 0
	.section	.AMDGPU.csdata,"",@progbits
; Kernel info:
; codeLenInByte = 464
; TotalNumSgprs: 22
; NumVgprs: 7
; ScratchSize: 0
; MemoryBound: 0
; FloatMode: 240
; IeeeMode: 1
; LDSByteSize: 0 bytes/workgroup (compile time only)
; SGPRBlocks: 2
; VGPRBlocks: 1
; NumSGPRsForWavesPerEU: 22
; NumVGPRsForWavesPerEU: 7
; Occupancy: 10
; WaveLimiterHint : 1
; COMPUTE_PGM_RSRC2:SCRATCH_EN: 0
; COMPUTE_PGM_RSRC2:USER_SGPR: 6
; COMPUTE_PGM_RSRC2:TRAP_HANDLER: 0
; COMPUTE_PGM_RSRC2:TGID_X_EN: 1
; COMPUTE_PGM_RSRC2:TGID_Y_EN: 0
; COMPUTE_PGM_RSRC2:TGID_Z_EN: 1
; COMPUTE_PGM_RSRC2:TIDIG_COMP_CNT: 0
	.section	.text._ZL26rocblas_haxpy_mlt_8_kernelILi256EPKDF16_PKS1_PKPDF16_EviT0_lT1_llT2_lli,"axG",@progbits,_ZL26rocblas_haxpy_mlt_8_kernelILi256EPKDF16_PKS1_PKPDF16_EviT0_lT1_llT2_lli,comdat
	.globl	_ZL26rocblas_haxpy_mlt_8_kernelILi256EPKDF16_PKS1_PKPDF16_EviT0_lT1_llT2_lli ; -- Begin function _ZL26rocblas_haxpy_mlt_8_kernelILi256EPKDF16_PKS1_PKPDF16_EviT0_lT1_llT2_lli
	.p2align	8
	.type	_ZL26rocblas_haxpy_mlt_8_kernelILi256EPKDF16_PKS1_PKPDF16_EviT0_lT1_llT2_lli,@function
_ZL26rocblas_haxpy_mlt_8_kernelILi256EPKDF16_PKS1_PKPDF16_EviT0_lT1_llT2_lli: ; @_ZL26rocblas_haxpy_mlt_8_kernelILi256EPKDF16_PKS1_PKPDF16_EviT0_lT1_llT2_lli
; %bb.0:
	s_load_dwordx8 s[8:15], s[4:5], 0x8
	v_mov_b32_e32 v1, 0
	s_waitcnt lgkmcnt(0)
	s_mul_i32 s1, s11, s7
	s_mul_hi_u32 s2, s10, s7
	s_add_i32 s3, s2, s1
	s_mul_i32 s2, s10, s7
	s_lshl_b64 s[2:3], s[2:3], 1
	s_add_u32 s2, s8, s2
	s_addc_u32 s3, s9, s3
	global_load_ushort v2, v1, s[2:3]
	s_mov_b32 s1, 0
	s_waitcnt vmcnt(0)
	v_and_b32_e32 v3, 0xffff, v2
	v_lshl_or_b32 v3, v2, 16, v3
	v_and_b32_e32 v3, 0x7fff, v3
	v_cmp_eq_u32_e32 vcc, 0, v3
	s_cbranch_vccnz .LBB146_3
; %bb.1:
	s_load_dword s2, s[4:5], 0x0
	v_lshl_or_b32 v0, s6, 8, v0
	v_lshlrev_b64 v[0:1], 3, v[0:1]
	s_waitcnt lgkmcnt(0)
	s_ashr_i32 s3, s2, 31
	v_cmp_gt_i64_e32 vcc, s[2:3], v[0:1]
	s_and_saveexec_b64 s[2:3], vcc
	s_cbranch_execz .LBB146_3
; %bb.2:
	s_mov_b32 s0, s7
	s_lshl_b64 s[6:7], s[0:1], 3
	s_add_u32 s8, s12, s6
	s_addc_u32 s9, s13, s7
	s_load_dwordx2 s[10:11], s[8:9], 0x0
	s_load_dwordx4 s[0:3], s[4:5], 0x30
	s_lshl_b64 s[4:5], s[14:15], 1
	v_lshlrev_b64 v[0:1], 1, v[0:1]
	s_waitcnt lgkmcnt(0)
	s_add_u32 s4, s10, s4
	s_addc_u32 s5, s11, s5
	s_add_u32 s0, s0, s6
	s_addc_u32 s1, s1, s7
	s_load_dwordx2 s[0:1], s[0:1], 0x0
	s_lshl_b64 s[2:3], s[2:3], 1
	v_mov_b32_e32 v3, s5
	v_add_co_u32_e32 v11, vcc, s4, v0
	s_waitcnt lgkmcnt(0)
	s_add_u32 s0, s0, s2
	v_addc_co_u32_e32 v12, vcc, v3, v1, vcc
	s_addc_u32 s1, s1, s3
	v_mov_b32_e32 v3, s1
	v_add_co_u32_e32 v0, vcc, s0, v0
	v_addc_co_u32_e32 v1, vcc, v3, v1, vcc
	flat_load_dwordx4 v[3:6], v[11:12]
	flat_load_dwordx4 v[7:10], v[0:1]
	s_waitcnt vmcnt(0) lgkmcnt(0)
	v_pk_fma_f16 v6, v2, v6, v10 op_sel_hi:[0,1,1]
	v_pk_fma_f16 v5, v2, v5, v9 op_sel_hi:[0,1,1]
	;; [unrolled: 1-line block ×4, first 2 shown]
	flat_store_dwordx4 v[0:1], v[3:6]
.LBB146_3:
	s_endpgm
	.section	.rodata,"a",@progbits
	.p2align	6, 0x0
	.amdhsa_kernel _ZL26rocblas_haxpy_mlt_8_kernelILi256EPKDF16_PKS1_PKPDF16_EviT0_lT1_llT2_lli
		.amdhsa_group_segment_fixed_size 0
		.amdhsa_private_segment_fixed_size 0
		.amdhsa_kernarg_size 76
		.amdhsa_user_sgpr_count 6
		.amdhsa_user_sgpr_private_segment_buffer 1
		.amdhsa_user_sgpr_dispatch_ptr 0
		.amdhsa_user_sgpr_queue_ptr 0
		.amdhsa_user_sgpr_kernarg_segment_ptr 1
		.amdhsa_user_sgpr_dispatch_id 0
		.amdhsa_user_sgpr_flat_scratch_init 0
		.amdhsa_user_sgpr_private_segment_size 0
		.amdhsa_uses_dynamic_stack 0
		.amdhsa_system_sgpr_private_segment_wavefront_offset 0
		.amdhsa_system_sgpr_workgroup_id_x 1
		.amdhsa_system_sgpr_workgroup_id_y 0
		.amdhsa_system_sgpr_workgroup_id_z 1
		.amdhsa_system_sgpr_workgroup_info 0
		.amdhsa_system_vgpr_workitem_id 0
		.amdhsa_next_free_vgpr 13
		.amdhsa_next_free_sgpr 16
		.amdhsa_reserve_vcc 1
		.amdhsa_reserve_flat_scratch 0
		.amdhsa_float_round_mode_32 0
		.amdhsa_float_round_mode_16_64 0
		.amdhsa_float_denorm_mode_32 3
		.amdhsa_float_denorm_mode_16_64 3
		.amdhsa_dx10_clamp 1
		.amdhsa_ieee_mode 1
		.amdhsa_fp16_overflow 0
		.amdhsa_exception_fp_ieee_invalid_op 0
		.amdhsa_exception_fp_denorm_src 0
		.amdhsa_exception_fp_ieee_div_zero 0
		.amdhsa_exception_fp_ieee_overflow 0
		.amdhsa_exception_fp_ieee_underflow 0
		.amdhsa_exception_fp_ieee_inexact 0
		.amdhsa_exception_int_div_zero 0
	.end_amdhsa_kernel
	.section	.text._ZL26rocblas_haxpy_mlt_8_kernelILi256EPKDF16_PKS1_PKPDF16_EviT0_lT1_llT2_lli,"axG",@progbits,_ZL26rocblas_haxpy_mlt_8_kernelILi256EPKDF16_PKS1_PKPDF16_EviT0_lT1_llT2_lli,comdat
.Lfunc_end146:
	.size	_ZL26rocblas_haxpy_mlt_8_kernelILi256EPKDF16_PKS1_PKPDF16_EviT0_lT1_llT2_lli, .Lfunc_end146-_ZL26rocblas_haxpy_mlt_8_kernelILi256EPKDF16_PKS1_PKPDF16_EviT0_lT1_llT2_lli
                                        ; -- End function
	.set _ZL26rocblas_haxpy_mlt_8_kernelILi256EPKDF16_PKS1_PKPDF16_EviT0_lT1_llT2_lli.num_vgpr, 13
	.set _ZL26rocblas_haxpy_mlt_8_kernelILi256EPKDF16_PKS1_PKPDF16_EviT0_lT1_llT2_lli.num_agpr, 0
	.set _ZL26rocblas_haxpy_mlt_8_kernelILi256EPKDF16_PKS1_PKPDF16_EviT0_lT1_llT2_lli.numbered_sgpr, 16
	.set _ZL26rocblas_haxpy_mlt_8_kernelILi256EPKDF16_PKS1_PKPDF16_EviT0_lT1_llT2_lli.num_named_barrier, 0
	.set _ZL26rocblas_haxpy_mlt_8_kernelILi256EPKDF16_PKS1_PKPDF16_EviT0_lT1_llT2_lli.private_seg_size, 0
	.set _ZL26rocblas_haxpy_mlt_8_kernelILi256EPKDF16_PKS1_PKPDF16_EviT0_lT1_llT2_lli.uses_vcc, 1
	.set _ZL26rocblas_haxpy_mlt_8_kernelILi256EPKDF16_PKS1_PKPDF16_EviT0_lT1_llT2_lli.uses_flat_scratch, 0
	.set _ZL26rocblas_haxpy_mlt_8_kernelILi256EPKDF16_PKS1_PKPDF16_EviT0_lT1_llT2_lli.has_dyn_sized_stack, 0
	.set _ZL26rocblas_haxpy_mlt_8_kernelILi256EPKDF16_PKS1_PKPDF16_EviT0_lT1_llT2_lli.has_recursion, 0
	.set _ZL26rocblas_haxpy_mlt_8_kernelILi256EPKDF16_PKS1_PKPDF16_EviT0_lT1_llT2_lli.has_indirect_call, 0
	.section	.AMDGPU.csdata,"",@progbits
; Kernel info:
; codeLenInByte = 312
; TotalNumSgprs: 20
; NumVgprs: 13
; ScratchSize: 0
; MemoryBound: 0
; FloatMode: 240
; IeeeMode: 1
; LDSByteSize: 0 bytes/workgroup (compile time only)
; SGPRBlocks: 2
; VGPRBlocks: 3
; NumSGPRsForWavesPerEU: 20
; NumVGPRsForWavesPerEU: 13
; Occupancy: 10
; WaveLimiterHint : 1
; COMPUTE_PGM_RSRC2:SCRATCH_EN: 0
; COMPUTE_PGM_RSRC2:USER_SGPR: 6
; COMPUTE_PGM_RSRC2:TRAP_HANDLER: 0
; COMPUTE_PGM_RSRC2:TGID_X_EN: 1
; COMPUTE_PGM_RSRC2:TGID_Y_EN: 0
; COMPUTE_PGM_RSRC2:TGID_Z_EN: 1
; COMPUTE_PGM_RSRC2:TIDIG_COMP_CNT: 0
	.section	.text._ZL26rocblas_haxpy_mod_8_kernelILi256EPKDF16_PKS1_PKPDF16_EviT0_lT1_llT2_lli,"axG",@progbits,_ZL26rocblas_haxpy_mod_8_kernelILi256EPKDF16_PKS1_PKPDF16_EviT0_lT1_llT2_lli,comdat
	.globl	_ZL26rocblas_haxpy_mod_8_kernelILi256EPKDF16_PKS1_PKPDF16_EviT0_lT1_llT2_lli ; -- Begin function _ZL26rocblas_haxpy_mod_8_kernelILi256EPKDF16_PKS1_PKPDF16_EviT0_lT1_llT2_lli
	.p2align	8
	.type	_ZL26rocblas_haxpy_mod_8_kernelILi256EPKDF16_PKS1_PKPDF16_EviT0_lT1_llT2_lli,@function
_ZL26rocblas_haxpy_mod_8_kernelILi256EPKDF16_PKS1_PKPDF16_EviT0_lT1_llT2_lli: ; @_ZL26rocblas_haxpy_mod_8_kernelILi256EPKDF16_PKS1_PKPDF16_EviT0_lT1_llT2_lli
; %bb.0:
	s_load_dword s0, s[4:5], 0x0
	s_load_dwordx8 s[8:15], s[4:5], 0x8
	s_mov_b32 s2, s7
	v_mov_b32_e32 v1, 0
	v_lshl_or_b32 v0, s6, 8, v0
	s_waitcnt lgkmcnt(0)
	s_ashr_i32 s1, s0, 31
	s_mul_i32 s3, s11, s7
	s_mul_hi_u32 s7, s10, s7
	s_add_i32 s11, s7, s3
	s_mul_i32 s10, s10, s2
	s_lshl_b64 s[10:11], s[10:11], 1
	s_add_u32 s8, s8, s10
	s_addc_u32 s9, s9, s11
	global_load_ushort v2, v1, s[8:9]
	v_cmp_gt_i64_e32 vcc, s[0:1], v[0:1]
	s_mov_b32 s3, 0
	s_waitcnt vmcnt(0)
	v_cmp_neq_f16_e64 s[0:1], 0, v2
	s_and_b64 s[0:1], vcc, s[0:1]
	s_and_saveexec_b64 s[6:7], s[0:1]
	s_cbranch_execz .LBB147_2
; %bb.1:
	s_lshl_b64 s[6:7], s[2:3], 3
	s_add_u32 s8, s12, s6
	s_addc_u32 s9, s13, s7
	s_load_dwordx2 s[10:11], s[8:9], 0x0
	s_load_dwordx4 s[0:3], s[4:5], 0x30
	s_lshl_b64 s[4:5], s[14:15], 1
	v_lshlrev_b64 v[0:1], 1, v[0:1]
	s_waitcnt lgkmcnt(0)
	s_add_u32 s4, s10, s4
	s_addc_u32 s5, s11, s5
	s_add_u32 s0, s0, s6
	s_addc_u32 s1, s1, s7
	s_load_dwordx2 s[0:1], s[0:1], 0x0
	s_lshl_b64 s[2:3], s[2:3], 1
	v_mov_b32_e32 v4, s5
	v_add_co_u32_e32 v3, vcc, s4, v0
	s_waitcnt lgkmcnt(0)
	s_add_u32 s0, s0, s2
	v_addc_co_u32_e32 v4, vcc, v4, v1, vcc
	s_addc_u32 s1, s1, s3
	v_mov_b32_e32 v5, s1
	v_add_co_u32_e32 v0, vcc, s0, v0
	v_addc_co_u32_e32 v1, vcc, v5, v1, vcc
	flat_load_ushort v5, v[3:4]
	flat_load_ushort v6, v[0:1]
	s_waitcnt vmcnt(0) lgkmcnt(0)
	v_fma_f16 v2, v2, v5, v6
	flat_store_short v[0:1], v2
.LBB147_2:
	s_endpgm
	.section	.rodata,"a",@progbits
	.p2align	6, 0x0
	.amdhsa_kernel _ZL26rocblas_haxpy_mod_8_kernelILi256EPKDF16_PKS1_PKPDF16_EviT0_lT1_llT2_lli
		.amdhsa_group_segment_fixed_size 0
		.amdhsa_private_segment_fixed_size 0
		.amdhsa_kernarg_size 76
		.amdhsa_user_sgpr_count 6
		.amdhsa_user_sgpr_private_segment_buffer 1
		.amdhsa_user_sgpr_dispatch_ptr 0
		.amdhsa_user_sgpr_queue_ptr 0
		.amdhsa_user_sgpr_kernarg_segment_ptr 1
		.amdhsa_user_sgpr_dispatch_id 0
		.amdhsa_user_sgpr_flat_scratch_init 0
		.amdhsa_user_sgpr_private_segment_size 0
		.amdhsa_uses_dynamic_stack 0
		.amdhsa_system_sgpr_private_segment_wavefront_offset 0
		.amdhsa_system_sgpr_workgroup_id_x 1
		.amdhsa_system_sgpr_workgroup_id_y 0
		.amdhsa_system_sgpr_workgroup_id_z 1
		.amdhsa_system_sgpr_workgroup_info 0
		.amdhsa_system_vgpr_workitem_id 0
		.amdhsa_next_free_vgpr 7
		.amdhsa_next_free_sgpr 16
		.amdhsa_reserve_vcc 1
		.amdhsa_reserve_flat_scratch 0
		.amdhsa_float_round_mode_32 0
		.amdhsa_float_round_mode_16_64 0
		.amdhsa_float_denorm_mode_32 3
		.amdhsa_float_denorm_mode_16_64 3
		.amdhsa_dx10_clamp 1
		.amdhsa_ieee_mode 1
		.amdhsa_fp16_overflow 0
		.amdhsa_exception_fp_ieee_invalid_op 0
		.amdhsa_exception_fp_denorm_src 0
		.amdhsa_exception_fp_ieee_div_zero 0
		.amdhsa_exception_fp_ieee_overflow 0
		.amdhsa_exception_fp_ieee_underflow 0
		.amdhsa_exception_fp_ieee_inexact 0
		.amdhsa_exception_int_div_zero 0
	.end_amdhsa_kernel
	.section	.text._ZL26rocblas_haxpy_mod_8_kernelILi256EPKDF16_PKS1_PKPDF16_EviT0_lT1_llT2_lli,"axG",@progbits,_ZL26rocblas_haxpy_mod_8_kernelILi256EPKDF16_PKS1_PKPDF16_EviT0_lT1_llT2_lli,comdat
.Lfunc_end147:
	.size	_ZL26rocblas_haxpy_mod_8_kernelILi256EPKDF16_PKS1_PKPDF16_EviT0_lT1_llT2_lli, .Lfunc_end147-_ZL26rocblas_haxpy_mod_8_kernelILi256EPKDF16_PKS1_PKPDF16_EviT0_lT1_llT2_lli
                                        ; -- End function
	.set _ZL26rocblas_haxpy_mod_8_kernelILi256EPKDF16_PKS1_PKPDF16_EviT0_lT1_llT2_lli.num_vgpr, 7
	.set _ZL26rocblas_haxpy_mod_8_kernelILi256EPKDF16_PKS1_PKPDF16_EviT0_lT1_llT2_lli.num_agpr, 0
	.set _ZL26rocblas_haxpy_mod_8_kernelILi256EPKDF16_PKS1_PKPDF16_EviT0_lT1_llT2_lli.numbered_sgpr, 16
	.set _ZL26rocblas_haxpy_mod_8_kernelILi256EPKDF16_PKS1_PKPDF16_EviT0_lT1_llT2_lli.num_named_barrier, 0
	.set _ZL26rocblas_haxpy_mod_8_kernelILi256EPKDF16_PKS1_PKPDF16_EviT0_lT1_llT2_lli.private_seg_size, 0
	.set _ZL26rocblas_haxpy_mod_8_kernelILi256EPKDF16_PKS1_PKPDF16_EviT0_lT1_llT2_lli.uses_vcc, 1
	.set _ZL26rocblas_haxpy_mod_8_kernelILi256EPKDF16_PKS1_PKPDF16_EviT0_lT1_llT2_lli.uses_flat_scratch, 0
	.set _ZL26rocblas_haxpy_mod_8_kernelILi256EPKDF16_PKS1_PKPDF16_EviT0_lT1_llT2_lli.has_dyn_sized_stack, 0
	.set _ZL26rocblas_haxpy_mod_8_kernelILi256EPKDF16_PKS1_PKPDF16_EviT0_lT1_llT2_lli.has_recursion, 0
	.set _ZL26rocblas_haxpy_mod_8_kernelILi256EPKDF16_PKS1_PKPDF16_EviT0_lT1_llT2_lli.has_indirect_call, 0
	.section	.AMDGPU.csdata,"",@progbits
; Kernel info:
; codeLenInByte = 256
; TotalNumSgprs: 20
; NumVgprs: 7
; ScratchSize: 0
; MemoryBound: 0
; FloatMode: 240
; IeeeMode: 1
; LDSByteSize: 0 bytes/workgroup (compile time only)
; SGPRBlocks: 2
; VGPRBlocks: 1
; NumSGPRsForWavesPerEU: 20
; NumVGPRsForWavesPerEU: 7
; Occupancy: 10
; WaveLimiterHint : 1
; COMPUTE_PGM_RSRC2:SCRATCH_EN: 0
; COMPUTE_PGM_RSRC2:USER_SGPR: 6
; COMPUTE_PGM_RSRC2:TRAP_HANDLER: 0
; COMPUTE_PGM_RSRC2:TGID_X_EN: 1
; COMPUTE_PGM_RSRC2:TGID_Y_EN: 0
; COMPUTE_PGM_RSRC2:TGID_Z_EN: 1
; COMPUTE_PGM_RSRC2:TIDIG_COMP_CNT: 0
	.section	.text._ZL26rocblas_haxpy_mlt_8_kernelILi256EDF16_PKPKDF16_PKPDF16_EviT0_lT1_llT2_lli,"axG",@progbits,_ZL26rocblas_haxpy_mlt_8_kernelILi256EDF16_PKPKDF16_PKPDF16_EviT0_lT1_llT2_lli,comdat
	.globl	_ZL26rocblas_haxpy_mlt_8_kernelILi256EDF16_PKPKDF16_PKPDF16_EviT0_lT1_llT2_lli ; -- Begin function _ZL26rocblas_haxpy_mlt_8_kernelILi256EDF16_PKPKDF16_PKPDF16_EviT0_lT1_llT2_lli
	.p2align	8
	.type	_ZL26rocblas_haxpy_mlt_8_kernelILi256EDF16_PKPKDF16_PKPDF16_EviT0_lT1_llT2_lli,@function
_ZL26rocblas_haxpy_mlt_8_kernelILi256EDF16_PKPKDF16_PKPDF16_EviT0_lT1_llT2_lli: ; @_ZL26rocblas_haxpy_mlt_8_kernelILi256EDF16_PKPKDF16_PKPDF16_EviT0_lT1_llT2_lli
; %bb.0:
	s_load_dwordx2 s[0:1], s[4:5], 0x0
	s_waitcnt lgkmcnt(0)
	s_pack_ll_b32_b16 s3, s1, s1
	s_and_b32 s3, s3, 0x7fff
	s_cmp_eq_u32 s3, 0
	s_cbranch_scc1 .LBB148_3
; %bb.1:
	v_lshl_or_b32 v0, s6, 8, v0
	v_mov_b32_e32 v1, 0
	v_lshlrev_b64 v[0:1], 3, v[0:1]
	s_mov_b32 s2, s7
	s_ashr_i32 s7, s0, 31
	s_mov_b32 s6, s0
	v_cmp_gt_i64_e32 vcc, s[6:7], v[0:1]
	s_and_saveexec_b64 s[6:7], vcc
	s_cbranch_execz .LBB148_3
; %bb.2:
	s_load_dwordx4 s[8:11], s[4:5], 0x10
	s_load_dwordx4 s[12:15], s[4:5], 0x28
	s_mov_b32 s3, 0
	s_lshl_b64 s[2:3], s[2:3], 3
	v_lshlrev_b64 v[0:1], 1, v[0:1]
	s_waitcnt lgkmcnt(0)
	s_add_u32 s4, s8, s2
	s_addc_u32 s5, s9, s3
	s_load_dwordx2 s[4:5], s[4:5], 0x0
	s_lshl_b64 s[6:7], s[10:11], 1
	s_waitcnt lgkmcnt(0)
	s_add_u32 s0, s4, s6
	s_addc_u32 s4, s5, s7
	s_add_u32 s2, s12, s2
	s_addc_u32 s3, s13, s3
	s_load_dwordx2 s[2:3], s[2:3], 0x0
	v_mov_b32_e32 v2, s4
	s_lshl_b64 s[4:5], s[14:15], 1
	v_add_co_u32_e32 v8, vcc, s0, v0
	s_waitcnt lgkmcnt(0)
	s_add_u32 s0, s2, s4
	v_addc_co_u32_e32 v9, vcc, v2, v1, vcc
	s_addc_u32 s2, s3, s5
	v_mov_b32_e32 v2, s2
	v_add_co_u32_e32 v10, vcc, s0, v0
	v_addc_co_u32_e32 v11, vcc, v2, v1, vcc
	flat_load_dwordx4 v[0:3], v[8:9]
	flat_load_dwordx4 v[4:7], v[10:11]
	s_waitcnt vmcnt(0) lgkmcnt(0)
	v_pk_fma_f16 v3, s1, v3, v7 op_sel_hi:[0,1,1]
	v_pk_fma_f16 v2, s1, v2, v6 op_sel_hi:[0,1,1]
	;; [unrolled: 1-line block ×4, first 2 shown]
	flat_store_dwordx4 v[10:11], v[0:3]
.LBB148_3:
	s_endpgm
	.section	.rodata,"a",@progbits
	.p2align	6, 0x0
	.amdhsa_kernel _ZL26rocblas_haxpy_mlt_8_kernelILi256EDF16_PKPKDF16_PKPDF16_EviT0_lT1_llT2_lli
		.amdhsa_group_segment_fixed_size 0
		.amdhsa_private_segment_fixed_size 0
		.amdhsa_kernarg_size 68
		.amdhsa_user_sgpr_count 6
		.amdhsa_user_sgpr_private_segment_buffer 1
		.amdhsa_user_sgpr_dispatch_ptr 0
		.amdhsa_user_sgpr_queue_ptr 0
		.amdhsa_user_sgpr_kernarg_segment_ptr 1
		.amdhsa_user_sgpr_dispatch_id 0
		.amdhsa_user_sgpr_flat_scratch_init 0
		.amdhsa_user_sgpr_private_segment_size 0
		.amdhsa_uses_dynamic_stack 0
		.amdhsa_system_sgpr_private_segment_wavefront_offset 0
		.amdhsa_system_sgpr_workgroup_id_x 1
		.amdhsa_system_sgpr_workgroup_id_y 0
		.amdhsa_system_sgpr_workgroup_id_z 1
		.amdhsa_system_sgpr_workgroup_info 0
		.amdhsa_system_vgpr_workitem_id 0
		.amdhsa_next_free_vgpr 12
		.amdhsa_next_free_sgpr 16
		.amdhsa_reserve_vcc 1
		.amdhsa_reserve_flat_scratch 0
		.amdhsa_float_round_mode_32 0
		.amdhsa_float_round_mode_16_64 0
		.amdhsa_float_denorm_mode_32 3
		.amdhsa_float_denorm_mode_16_64 3
		.amdhsa_dx10_clamp 1
		.amdhsa_ieee_mode 1
		.amdhsa_fp16_overflow 0
		.amdhsa_exception_fp_ieee_invalid_op 0
		.amdhsa_exception_fp_denorm_src 0
		.amdhsa_exception_fp_ieee_div_zero 0
		.amdhsa_exception_fp_ieee_overflow 0
		.amdhsa_exception_fp_ieee_underflow 0
		.amdhsa_exception_fp_ieee_inexact 0
		.amdhsa_exception_int_div_zero 0
	.end_amdhsa_kernel
	.section	.text._ZL26rocblas_haxpy_mlt_8_kernelILi256EDF16_PKPKDF16_PKPDF16_EviT0_lT1_llT2_lli,"axG",@progbits,_ZL26rocblas_haxpy_mlt_8_kernelILi256EDF16_PKPKDF16_PKPDF16_EviT0_lT1_llT2_lli,comdat
.Lfunc_end148:
	.size	_ZL26rocblas_haxpy_mlt_8_kernelILi256EDF16_PKPKDF16_PKPDF16_EviT0_lT1_llT2_lli, .Lfunc_end148-_ZL26rocblas_haxpy_mlt_8_kernelILi256EDF16_PKPKDF16_PKPDF16_EviT0_lT1_llT2_lli
                                        ; -- End function
	.set _ZL26rocblas_haxpy_mlt_8_kernelILi256EDF16_PKPKDF16_PKPDF16_EviT0_lT1_llT2_lli.num_vgpr, 12
	.set _ZL26rocblas_haxpy_mlt_8_kernelILi256EDF16_PKPKDF16_PKPDF16_EviT0_lT1_llT2_lli.num_agpr, 0
	.set _ZL26rocblas_haxpy_mlt_8_kernelILi256EDF16_PKPKDF16_PKPDF16_EviT0_lT1_llT2_lli.numbered_sgpr, 16
	.set _ZL26rocblas_haxpy_mlt_8_kernelILi256EDF16_PKPKDF16_PKPDF16_EviT0_lT1_llT2_lli.num_named_barrier, 0
	.set _ZL26rocblas_haxpy_mlt_8_kernelILi256EDF16_PKPKDF16_PKPDF16_EviT0_lT1_llT2_lli.private_seg_size, 0
	.set _ZL26rocblas_haxpy_mlt_8_kernelILi256EDF16_PKPKDF16_PKPDF16_EviT0_lT1_llT2_lli.uses_vcc, 1
	.set _ZL26rocblas_haxpy_mlt_8_kernelILi256EDF16_PKPKDF16_PKPDF16_EviT0_lT1_llT2_lli.uses_flat_scratch, 0
	.set _ZL26rocblas_haxpy_mlt_8_kernelILi256EDF16_PKPKDF16_PKPDF16_EviT0_lT1_llT2_lli.has_dyn_sized_stack, 0
	.set _ZL26rocblas_haxpy_mlt_8_kernelILi256EDF16_PKPKDF16_PKPDF16_EviT0_lT1_llT2_lli.has_recursion, 0
	.set _ZL26rocblas_haxpy_mlt_8_kernelILi256EDF16_PKPKDF16_PKPDF16_EviT0_lT1_llT2_lli.has_indirect_call, 0
	.section	.AMDGPU.csdata,"",@progbits
; Kernel info:
; codeLenInByte = 264
; TotalNumSgprs: 20
; NumVgprs: 12
; ScratchSize: 0
; MemoryBound: 0
; FloatMode: 240
; IeeeMode: 1
; LDSByteSize: 0 bytes/workgroup (compile time only)
; SGPRBlocks: 2
; VGPRBlocks: 2
; NumSGPRsForWavesPerEU: 20
; NumVGPRsForWavesPerEU: 12
; Occupancy: 10
; WaveLimiterHint : 1
; COMPUTE_PGM_RSRC2:SCRATCH_EN: 0
; COMPUTE_PGM_RSRC2:USER_SGPR: 6
; COMPUTE_PGM_RSRC2:TRAP_HANDLER: 0
; COMPUTE_PGM_RSRC2:TGID_X_EN: 1
; COMPUTE_PGM_RSRC2:TGID_Y_EN: 0
; COMPUTE_PGM_RSRC2:TGID_Z_EN: 1
; COMPUTE_PGM_RSRC2:TIDIG_COMP_CNT: 0
	.section	.text._ZL26rocblas_haxpy_mod_8_kernelILi256EDF16_PKPKDF16_PKPDF16_EviT0_lT1_llT2_lli,"axG",@progbits,_ZL26rocblas_haxpy_mod_8_kernelILi256EDF16_PKPKDF16_PKPDF16_EviT0_lT1_llT2_lli,comdat
	.globl	_ZL26rocblas_haxpy_mod_8_kernelILi256EDF16_PKPKDF16_PKPDF16_EviT0_lT1_llT2_lli ; -- Begin function _ZL26rocblas_haxpy_mod_8_kernelILi256EDF16_PKPKDF16_PKPDF16_EviT0_lT1_llT2_lli
	.p2align	8
	.type	_ZL26rocblas_haxpy_mod_8_kernelILi256EDF16_PKPKDF16_PKPDF16_EviT0_lT1_llT2_lli,@function
_ZL26rocblas_haxpy_mod_8_kernelILi256EDF16_PKPKDF16_PKPDF16_EviT0_lT1_llT2_lli: ; @_ZL26rocblas_haxpy_mod_8_kernelILi256EDF16_PKPKDF16_PKPDF16_EviT0_lT1_llT2_lli
; %bb.0:
	s_load_dwordx2 s[0:1], s[4:5], 0x0
	s_mov_b32 s2, s7
	v_lshl_or_b32 v0, s6, 8, v0
	v_mov_b32_e32 v1, 0
	s_mov_b32 s3, 0
	s_waitcnt lgkmcnt(0)
	s_ashr_i32 s7, s0, 31
	s_mov_b32 s6, s0
	v_cmp_gt_i64_e32 vcc, s[6:7], v[0:1]
	v_cmp_neq_f16_e64 s[6:7], s1, 0
	s_and_b64 s[6:7], s[6:7], vcc
	s_and_saveexec_b64 s[8:9], s[6:7]
	s_cbranch_execz .LBB149_2
; %bb.1:
	s_load_dwordx4 s[8:11], s[4:5], 0x10
	s_load_dwordx4 s[12:15], s[4:5], 0x28
	s_lshl_b64 s[2:3], s[2:3], 3
	v_lshlrev_b64 v[0:1], 1, v[0:1]
	s_waitcnt lgkmcnt(0)
	s_add_u32 s4, s8, s2
	s_addc_u32 s5, s9, s3
	s_load_dwordx2 s[4:5], s[4:5], 0x0
	s_lshl_b64 s[6:7], s[10:11], 1
	s_waitcnt lgkmcnt(0)
	s_add_u32 s0, s4, s6
	s_addc_u32 s4, s5, s7
	s_add_u32 s2, s12, s2
	s_addc_u32 s3, s13, s3
	s_load_dwordx2 s[2:3], s[2:3], 0x0
	v_mov_b32_e32 v3, s4
	s_lshl_b64 s[4:5], s[14:15], 1
	v_add_co_u32_e32 v2, vcc, s0, v0
	s_waitcnt lgkmcnt(0)
	s_add_u32 s0, s2, s4
	v_addc_co_u32_e32 v3, vcc, v3, v1, vcc
	s_addc_u32 s2, s3, s5
	v_mov_b32_e32 v4, s2
	v_add_co_u32_e32 v0, vcc, s0, v0
	v_addc_co_u32_e32 v1, vcc, v4, v1, vcc
	flat_load_ushort v4, v[2:3]
	flat_load_ushort v5, v[0:1]
	s_waitcnt vmcnt(0) lgkmcnt(0)
	v_fma_f16 v2, s1, v4, v5
	flat_store_short v[0:1], v2
.LBB149_2:
	s_endpgm
	.section	.rodata,"a",@progbits
	.p2align	6, 0x0
	.amdhsa_kernel _ZL26rocblas_haxpy_mod_8_kernelILi256EDF16_PKPKDF16_PKPDF16_EviT0_lT1_llT2_lli
		.amdhsa_group_segment_fixed_size 0
		.amdhsa_private_segment_fixed_size 0
		.amdhsa_kernarg_size 68
		.amdhsa_user_sgpr_count 6
		.amdhsa_user_sgpr_private_segment_buffer 1
		.amdhsa_user_sgpr_dispatch_ptr 0
		.amdhsa_user_sgpr_queue_ptr 0
		.amdhsa_user_sgpr_kernarg_segment_ptr 1
		.amdhsa_user_sgpr_dispatch_id 0
		.amdhsa_user_sgpr_flat_scratch_init 0
		.amdhsa_user_sgpr_private_segment_size 0
		.amdhsa_uses_dynamic_stack 0
		.amdhsa_system_sgpr_private_segment_wavefront_offset 0
		.amdhsa_system_sgpr_workgroup_id_x 1
		.amdhsa_system_sgpr_workgroup_id_y 0
		.amdhsa_system_sgpr_workgroup_id_z 1
		.amdhsa_system_sgpr_workgroup_info 0
		.amdhsa_system_vgpr_workitem_id 0
		.amdhsa_next_free_vgpr 6
		.amdhsa_next_free_sgpr 16
		.amdhsa_reserve_vcc 1
		.amdhsa_reserve_flat_scratch 0
		.amdhsa_float_round_mode_32 0
		.amdhsa_float_round_mode_16_64 0
		.amdhsa_float_denorm_mode_32 3
		.amdhsa_float_denorm_mode_16_64 3
		.amdhsa_dx10_clamp 1
		.amdhsa_ieee_mode 1
		.amdhsa_fp16_overflow 0
		.amdhsa_exception_fp_ieee_invalid_op 0
		.amdhsa_exception_fp_denorm_src 0
		.amdhsa_exception_fp_ieee_div_zero 0
		.amdhsa_exception_fp_ieee_overflow 0
		.amdhsa_exception_fp_ieee_underflow 0
		.amdhsa_exception_fp_ieee_inexact 0
		.amdhsa_exception_int_div_zero 0
	.end_amdhsa_kernel
	.section	.text._ZL26rocblas_haxpy_mod_8_kernelILi256EDF16_PKPKDF16_PKPDF16_EviT0_lT1_llT2_lli,"axG",@progbits,_ZL26rocblas_haxpy_mod_8_kernelILi256EDF16_PKPKDF16_PKPDF16_EviT0_lT1_llT2_lli,comdat
.Lfunc_end149:
	.size	_ZL26rocblas_haxpy_mod_8_kernelILi256EDF16_PKPKDF16_PKPDF16_EviT0_lT1_llT2_lli, .Lfunc_end149-_ZL26rocblas_haxpy_mod_8_kernelILi256EDF16_PKPKDF16_PKPDF16_EviT0_lT1_llT2_lli
                                        ; -- End function
	.set _ZL26rocblas_haxpy_mod_8_kernelILi256EDF16_PKPKDF16_PKPDF16_EviT0_lT1_llT2_lli.num_vgpr, 6
	.set _ZL26rocblas_haxpy_mod_8_kernelILi256EDF16_PKPKDF16_PKPDF16_EviT0_lT1_llT2_lli.num_agpr, 0
	.set _ZL26rocblas_haxpy_mod_8_kernelILi256EDF16_PKPKDF16_PKPDF16_EviT0_lT1_llT2_lli.numbered_sgpr, 16
	.set _ZL26rocblas_haxpy_mod_8_kernelILi256EDF16_PKPKDF16_PKPDF16_EviT0_lT1_llT2_lli.num_named_barrier, 0
	.set _ZL26rocblas_haxpy_mod_8_kernelILi256EDF16_PKPKDF16_PKPDF16_EviT0_lT1_llT2_lli.private_seg_size, 0
	.set _ZL26rocblas_haxpy_mod_8_kernelILi256EDF16_PKPKDF16_PKPDF16_EviT0_lT1_llT2_lli.uses_vcc, 1
	.set _ZL26rocblas_haxpy_mod_8_kernelILi256EDF16_PKPKDF16_PKPDF16_EviT0_lT1_llT2_lli.uses_flat_scratch, 0
	.set _ZL26rocblas_haxpy_mod_8_kernelILi256EDF16_PKPKDF16_PKPDF16_EviT0_lT1_llT2_lli.has_dyn_sized_stack, 0
	.set _ZL26rocblas_haxpy_mod_8_kernelILi256EDF16_PKPKDF16_PKPDF16_EviT0_lT1_llT2_lli.has_recursion, 0
	.set _ZL26rocblas_haxpy_mod_8_kernelILi256EDF16_PKPKDF16_PKPDF16_EviT0_lT1_llT2_lli.has_indirect_call, 0
	.section	.AMDGPU.csdata,"",@progbits
; Kernel info:
; codeLenInByte = 224
; TotalNumSgprs: 20
; NumVgprs: 6
; ScratchSize: 0
; MemoryBound: 0
; FloatMode: 240
; IeeeMode: 1
; LDSByteSize: 0 bytes/workgroup (compile time only)
; SGPRBlocks: 2
; VGPRBlocks: 1
; NumSGPRsForWavesPerEU: 20
; NumVGPRsForWavesPerEU: 6
; Occupancy: 10
; WaveLimiterHint : 1
; COMPUTE_PGM_RSRC2:SCRATCH_EN: 0
; COMPUTE_PGM_RSRC2:USER_SGPR: 6
; COMPUTE_PGM_RSRC2:TRAP_HANDLER: 0
; COMPUTE_PGM_RSRC2:TGID_X_EN: 1
; COMPUTE_PGM_RSRC2:TGID_Y_EN: 0
; COMPUTE_PGM_RSRC2:TGID_Z_EN: 1
; COMPUTE_PGM_RSRC2:TIDIG_COMP_CNT: 0
	.section	.text._ZL22rocblas_saxpy_2_kernelILi256EfPKDF16_PKS1_PKPDF16_EviT1_lT2_llT3_lli,"axG",@progbits,_ZL22rocblas_saxpy_2_kernelILi256EfPKDF16_PKS1_PKPDF16_EviT1_lT2_llT3_lli,comdat
	.globl	_ZL22rocblas_saxpy_2_kernelILi256EfPKDF16_PKS1_PKPDF16_EviT1_lT2_llT3_lli ; -- Begin function _ZL22rocblas_saxpy_2_kernelILi256EfPKDF16_PKS1_PKPDF16_EviT1_lT2_llT3_lli
	.p2align	8
	.type	_ZL22rocblas_saxpy_2_kernelILi256EfPKDF16_PKS1_PKPDF16_EviT1_lT2_llT3_lli,@function
_ZL22rocblas_saxpy_2_kernelILi256EfPKDF16_PKS1_PKPDF16_EviT1_lT2_llT3_lli: ; @_ZL22rocblas_saxpy_2_kernelILi256EfPKDF16_PKS1_PKPDF16_EviT1_lT2_llT3_lli
; %bb.0:
	s_load_dwordx4 s[8:11], s[4:5], 0x8
	v_mov_b32_e32 v1, 0
	s_waitcnt lgkmcnt(0)
	s_mul_i32 s1, s11, s7
	s_mul_hi_u32 s2, s10, s7
	s_add_i32 s3, s2, s1
	s_mul_i32 s2, s10, s7
	s_lshl_b64 s[2:3], s[2:3], 1
	s_add_u32 s2, s8, s2
	s_addc_u32 s3, s9, s3
	global_load_ushort v4, v1, s[2:3]
	s_mov_b32 s1, 0
	s_waitcnt vmcnt(0)
	v_cmp_eq_f16_e32 vcc, 0, v4
	s_cbranch_vccnz .LBB150_5
; %bb.1:
	s_mov_b32 s0, s7
	s_load_dwordx4 s[8:11], s[4:5], 0x18
	s_load_dword s7, s[4:5], 0x0
	s_lshl_b64 s[12:13], s[0:1], 3
	v_lshlrev_b32_e32 v0, 1, v0
	v_lshl_or_b32 v0, s6, 9, v0
	s_waitcnt lgkmcnt(0)
	s_add_u32 s8, s8, s12
	s_addc_u32 s9, s9, s13
	s_load_dwordx2 s[14:15], s[8:9], 0x0
	s_load_dwordx4 s[0:3], s[4:5], 0x30
	s_lshl_b64 s[4:5], s[10:11], 1
	v_lshlrev_b64 v[2:3], 1, v[0:1]
	s_waitcnt lgkmcnt(0)
	s_add_u32 s4, s14, s4
	s_addc_u32 s5, s15, s5
	s_add_u32 s0, s0, s12
	s_addc_u32 s1, s1, s13
	s_load_dwordx2 s[0:1], s[0:1], 0x0
	s_lshl_b64 s[2:3], s[2:3], 1
	s_waitcnt lgkmcnt(0)
	s_add_u32 s6, s0, s2
	s_addc_u32 s8, s1, s3
	s_add_i32 s0, s7, -1
	s_ashr_i32 s1, s0, 31
	v_cmp_gt_i64_e32 vcc, s[0:1], v[0:1]
	s_and_saveexec_b64 s[2:3], vcc
	s_cbranch_execz .LBB150_3
; %bb.2:
	v_mov_b32_e32 v6, s8
	v_add_co_u32_e32 v5, vcc, s6, v2
	v_addc_co_u32_e32 v6, vcc, v6, v3, vcc
	v_mov_b32_e32 v8, s5
	v_add_co_u32_e32 v7, vcc, s4, v2
	v_addc_co_u32_e32 v8, vcc, v8, v3, vcc
	flat_load_dword v9, v[5:6]
	flat_load_ushort v10, v[7:8]
	s_waitcnt vmcnt(0) lgkmcnt(0)
	v_fma_mixlo_f16 v10, v4, v10, v9 op_sel_hi:[1,1,1]
	flat_store_short v[5:6], v10
	flat_load_ushort v7, v[7:8] offset:2
	s_waitcnt vmcnt(0) lgkmcnt(0)
	v_fma_mixlo_f16 v7, v4, v7, v9 op_sel:[0,0,1] op_sel_hi:[1,1,1]
	flat_store_short v[5:6], v7 offset:2
.LBB150_3:
	s_or_b64 exec, exec, s[2:3]
	s_bitcmp1_b32 s7, 0
	v_cmp_eq_u64_e32 vcc, s[0:1], v[0:1]
	s_cselect_b64 s[0:1], -1, 0
	s_and_b64 s[0:1], s[0:1], vcc
	s_and_saveexec_b64 s[2:3], s[0:1]
	s_cbranch_execz .LBB150_5
; %bb.4:
	v_mov_b32_e32 v1, s8
	v_add_co_u32_e32 v0, vcc, s6, v2
	v_addc_co_u32_e32 v1, vcc, v1, v3, vcc
	v_mov_b32_e32 v6, s5
	v_add_co_u32_e32 v2, vcc, s4, v2
	v_addc_co_u32_e32 v3, vcc, v6, v3, vcc
	flat_load_ushort v5, v[0:1]
	s_nop 0
	flat_load_ushort v2, v[2:3]
	s_waitcnt vmcnt(0) lgkmcnt(0)
	v_fma_mixlo_f16 v2, v4, v2, v5 op_sel_hi:[1,1,1]
	flat_store_short v[0:1], v2
.LBB150_5:
	s_endpgm
	.section	.rodata,"a",@progbits
	.p2align	6, 0x0
	.amdhsa_kernel _ZL22rocblas_saxpy_2_kernelILi256EfPKDF16_PKS1_PKPDF16_EviT1_lT2_llT3_lli
		.amdhsa_group_segment_fixed_size 0
		.amdhsa_private_segment_fixed_size 0
		.amdhsa_kernarg_size 76
		.amdhsa_user_sgpr_count 6
		.amdhsa_user_sgpr_private_segment_buffer 1
		.amdhsa_user_sgpr_dispatch_ptr 0
		.amdhsa_user_sgpr_queue_ptr 0
		.amdhsa_user_sgpr_kernarg_segment_ptr 1
		.amdhsa_user_sgpr_dispatch_id 0
		.amdhsa_user_sgpr_flat_scratch_init 0
		.amdhsa_user_sgpr_private_segment_size 0
		.amdhsa_uses_dynamic_stack 0
		.amdhsa_system_sgpr_private_segment_wavefront_offset 0
		.amdhsa_system_sgpr_workgroup_id_x 1
		.amdhsa_system_sgpr_workgroup_id_y 0
		.amdhsa_system_sgpr_workgroup_id_z 1
		.amdhsa_system_sgpr_workgroup_info 0
		.amdhsa_system_vgpr_workitem_id 0
		.amdhsa_next_free_vgpr 11
		.amdhsa_next_free_sgpr 16
		.amdhsa_reserve_vcc 1
		.amdhsa_reserve_flat_scratch 0
		.amdhsa_float_round_mode_32 0
		.amdhsa_float_round_mode_16_64 0
		.amdhsa_float_denorm_mode_32 3
		.amdhsa_float_denorm_mode_16_64 3
		.amdhsa_dx10_clamp 1
		.amdhsa_ieee_mode 1
		.amdhsa_fp16_overflow 0
		.amdhsa_exception_fp_ieee_invalid_op 0
		.amdhsa_exception_fp_denorm_src 0
		.amdhsa_exception_fp_ieee_div_zero 0
		.amdhsa_exception_fp_ieee_overflow 0
		.amdhsa_exception_fp_ieee_underflow 0
		.amdhsa_exception_fp_ieee_inexact 0
		.amdhsa_exception_int_div_zero 0
	.end_amdhsa_kernel
	.section	.text._ZL22rocblas_saxpy_2_kernelILi256EfPKDF16_PKS1_PKPDF16_EviT1_lT2_llT3_lli,"axG",@progbits,_ZL22rocblas_saxpy_2_kernelILi256EfPKDF16_PKS1_PKPDF16_EviT1_lT2_llT3_lli,comdat
.Lfunc_end150:
	.size	_ZL22rocblas_saxpy_2_kernelILi256EfPKDF16_PKS1_PKPDF16_EviT1_lT2_llT3_lli, .Lfunc_end150-_ZL22rocblas_saxpy_2_kernelILi256EfPKDF16_PKS1_PKPDF16_EviT1_lT2_llT3_lli
                                        ; -- End function
	.set _ZL22rocblas_saxpy_2_kernelILi256EfPKDF16_PKS1_PKPDF16_EviT1_lT2_llT3_lli.num_vgpr, 11
	.set _ZL22rocblas_saxpy_2_kernelILi256EfPKDF16_PKS1_PKPDF16_EviT1_lT2_llT3_lli.num_agpr, 0
	.set _ZL22rocblas_saxpy_2_kernelILi256EfPKDF16_PKS1_PKPDF16_EviT1_lT2_llT3_lli.numbered_sgpr, 16
	.set _ZL22rocblas_saxpy_2_kernelILi256EfPKDF16_PKS1_PKPDF16_EviT1_lT2_llT3_lli.num_named_barrier, 0
	.set _ZL22rocblas_saxpy_2_kernelILi256EfPKDF16_PKS1_PKPDF16_EviT1_lT2_llT3_lli.private_seg_size, 0
	.set _ZL22rocblas_saxpy_2_kernelILi256EfPKDF16_PKS1_PKPDF16_EviT1_lT2_llT3_lli.uses_vcc, 1
	.set _ZL22rocblas_saxpy_2_kernelILi256EfPKDF16_PKS1_PKPDF16_EviT1_lT2_llT3_lli.uses_flat_scratch, 0
	.set _ZL22rocblas_saxpy_2_kernelILi256EfPKDF16_PKS1_PKPDF16_EviT1_lT2_llT3_lli.has_dyn_sized_stack, 0
	.set _ZL22rocblas_saxpy_2_kernelILi256EfPKDF16_PKS1_PKPDF16_EviT1_lT2_llT3_lli.has_recursion, 0
	.set _ZL22rocblas_saxpy_2_kernelILi256EfPKDF16_PKS1_PKPDF16_EviT1_lT2_llT3_lli.has_indirect_call, 0
	.section	.AMDGPU.csdata,"",@progbits
; Kernel info:
; codeLenInByte = 392
; TotalNumSgprs: 20
; NumVgprs: 11
; ScratchSize: 0
; MemoryBound: 0
; FloatMode: 240
; IeeeMode: 1
; LDSByteSize: 0 bytes/workgroup (compile time only)
; SGPRBlocks: 2
; VGPRBlocks: 2
; NumSGPRsForWavesPerEU: 20
; NumVGPRsForWavesPerEU: 11
; Occupancy: 10
; WaveLimiterHint : 1
; COMPUTE_PGM_RSRC2:SCRATCH_EN: 0
; COMPUTE_PGM_RSRC2:USER_SGPR: 6
; COMPUTE_PGM_RSRC2:TRAP_HANDLER: 0
; COMPUTE_PGM_RSRC2:TGID_X_EN: 1
; COMPUTE_PGM_RSRC2:TGID_Y_EN: 0
; COMPUTE_PGM_RSRC2:TGID_Z_EN: 1
; COMPUTE_PGM_RSRC2:TIDIG_COMP_CNT: 0
	.section	.text._ZL22rocblas_saxpy_2_kernelILi256EfDF16_PKPKDF16_PKPDF16_EviT1_lT2_llT3_lli,"axG",@progbits,_ZL22rocblas_saxpy_2_kernelILi256EfDF16_PKPKDF16_PKPDF16_EviT1_lT2_llT3_lli,comdat
	.globl	_ZL22rocblas_saxpy_2_kernelILi256EfDF16_PKPKDF16_PKPDF16_EviT1_lT2_llT3_lli ; -- Begin function _ZL22rocblas_saxpy_2_kernelILi256EfDF16_PKPKDF16_PKPDF16_EviT1_lT2_llT3_lli
	.p2align	8
	.type	_ZL22rocblas_saxpy_2_kernelILi256EfDF16_PKPKDF16_PKPDF16_EviT1_lT2_llT3_lli,@function
_ZL22rocblas_saxpy_2_kernelILi256EfDF16_PKPKDF16_PKPDF16_EviT1_lT2_llT3_lli: ; @_ZL22rocblas_saxpy_2_kernelILi256EfDF16_PKPKDF16_PKPDF16_EviT1_lT2_llT3_lli
; %bb.0:
	s_load_dwordx2 s[0:1], s[4:5], 0x0
	s_mov_b32 s3, 0
	s_waitcnt lgkmcnt(0)
	v_cmp_eq_f16_e64 s[8:9], s1, 0
	s_and_b64 vcc, exec, s[8:9]
	s_cbranch_vccnz .LBB151_5
; %bb.1:
	s_load_dwordx4 s[8:11], s[4:5], 0x10
	s_load_dwordx4 s[12:15], s[4:5], 0x28
	s_mov_b32 s2, s7
	s_lshl_b64 s[2:3], s[2:3], 3
	v_lshlrev_b32_e32 v0, 1, v0
	s_waitcnt lgkmcnt(0)
	s_add_u32 s4, s8, s2
	s_addc_u32 s5, s9, s3
	s_load_dwordx2 s[4:5], s[4:5], 0x0
	s_lshl_b64 s[8:9], s[10:11], 1
	v_lshl_or_b32 v2, s6, 9, v0
	v_mov_b32_e32 v3, 0
	v_lshlrev_b64 v[0:1], 1, v[2:3]
	s_waitcnt lgkmcnt(0)
	s_add_u32 s7, s4, s8
	s_addc_u32 s8, s5, s9
	s_add_u32 s2, s12, s2
	s_addc_u32 s3, s13, s3
	s_load_dwordx2 s[2:3], s[2:3], 0x0
	s_lshl_b64 s[4:5], s[14:15], 1
	s_waitcnt lgkmcnt(0)
	s_add_u32 s6, s2, s4
	s_addc_u32 s9, s3, s5
	s_add_i32 s2, s0, -1
	s_ashr_i32 s3, s2, 31
	v_cmp_gt_i64_e32 vcc, s[2:3], v[2:3]
	s_and_saveexec_b64 s[4:5], vcc
	s_cbranch_execz .LBB151_3
; %bb.2:
	v_mov_b32_e32 v5, s9
	v_add_co_u32_e32 v4, vcc, s6, v0
	v_addc_co_u32_e32 v5, vcc, v5, v1, vcc
	v_mov_b32_e32 v7, s8
	v_add_co_u32_e32 v6, vcc, s7, v0
	v_addc_co_u32_e32 v7, vcc, v7, v1, vcc
	flat_load_dword v8, v[4:5]
	flat_load_ushort v9, v[6:7]
	s_waitcnt vmcnt(0) lgkmcnt(0)
	v_fma_mixlo_f16 v9, s1, v9, v8 op_sel_hi:[1,1,1]
	flat_store_short v[4:5], v9
	flat_load_ushort v6, v[6:7] offset:2
	s_waitcnt vmcnt(0) lgkmcnt(0)
	v_fma_mixlo_f16 v6, s1, v6, v8 op_sel:[0,0,1] op_sel_hi:[1,1,1]
	flat_store_short v[4:5], v6 offset:2
.LBB151_3:
	s_or_b64 exec, exec, s[4:5]
	s_bitcmp1_b32 s0, 0
	v_cmp_eq_u64_e32 vcc, s[2:3], v[2:3]
	s_cselect_b64 s[2:3], -1, 0
	s_and_b64 s[2:3], s[2:3], vcc
	s_and_saveexec_b64 s[4:5], s[2:3]
	s_cbranch_execz .LBB151_5
; %bb.4:
	v_mov_b32_e32 v3, s9
	v_add_co_u32_e32 v2, vcc, s6, v0
	v_addc_co_u32_e32 v3, vcc, v3, v1, vcc
	v_mov_b32_e32 v5, s8
	v_add_co_u32_e32 v0, vcc, s7, v0
	v_addc_co_u32_e32 v1, vcc, v5, v1, vcc
	flat_load_ushort v4, v[2:3]
	s_nop 0
	flat_load_ushort v0, v[0:1]
	s_waitcnt vmcnt(0) lgkmcnt(0)
	v_fma_mixlo_f16 v0, s1, v0, v4 op_sel_hi:[1,1,1]
	flat_store_short v[2:3], v0
.LBB151_5:
	s_endpgm
	.section	.rodata,"a",@progbits
	.p2align	6, 0x0
	.amdhsa_kernel _ZL22rocblas_saxpy_2_kernelILi256EfDF16_PKPKDF16_PKPDF16_EviT1_lT2_llT3_lli
		.amdhsa_group_segment_fixed_size 0
		.amdhsa_private_segment_fixed_size 0
		.amdhsa_kernarg_size 68
		.amdhsa_user_sgpr_count 6
		.amdhsa_user_sgpr_private_segment_buffer 1
		.amdhsa_user_sgpr_dispatch_ptr 0
		.amdhsa_user_sgpr_queue_ptr 0
		.amdhsa_user_sgpr_kernarg_segment_ptr 1
		.amdhsa_user_sgpr_dispatch_id 0
		.amdhsa_user_sgpr_flat_scratch_init 0
		.amdhsa_user_sgpr_private_segment_size 0
		.amdhsa_uses_dynamic_stack 0
		.amdhsa_system_sgpr_private_segment_wavefront_offset 0
		.amdhsa_system_sgpr_workgroup_id_x 1
		.amdhsa_system_sgpr_workgroup_id_y 0
		.amdhsa_system_sgpr_workgroup_id_z 1
		.amdhsa_system_sgpr_workgroup_info 0
		.amdhsa_system_vgpr_workitem_id 0
		.amdhsa_next_free_vgpr 10
		.amdhsa_next_free_sgpr 16
		.amdhsa_reserve_vcc 1
		.amdhsa_reserve_flat_scratch 0
		.amdhsa_float_round_mode_32 0
		.amdhsa_float_round_mode_16_64 0
		.amdhsa_float_denorm_mode_32 3
		.amdhsa_float_denorm_mode_16_64 3
		.amdhsa_dx10_clamp 1
		.amdhsa_ieee_mode 1
		.amdhsa_fp16_overflow 0
		.amdhsa_exception_fp_ieee_invalid_op 0
		.amdhsa_exception_fp_denorm_src 0
		.amdhsa_exception_fp_ieee_div_zero 0
		.amdhsa_exception_fp_ieee_overflow 0
		.amdhsa_exception_fp_ieee_underflow 0
		.amdhsa_exception_fp_ieee_inexact 0
		.amdhsa_exception_int_div_zero 0
	.end_amdhsa_kernel
	.section	.text._ZL22rocblas_saxpy_2_kernelILi256EfDF16_PKPKDF16_PKPDF16_EviT1_lT2_llT3_lli,"axG",@progbits,_ZL22rocblas_saxpy_2_kernelILi256EfDF16_PKPKDF16_PKPDF16_EviT1_lT2_llT3_lli,comdat
.Lfunc_end151:
	.size	_ZL22rocblas_saxpy_2_kernelILi256EfDF16_PKPKDF16_PKPDF16_EviT1_lT2_llT3_lli, .Lfunc_end151-_ZL22rocblas_saxpy_2_kernelILi256EfDF16_PKPKDF16_PKPDF16_EviT1_lT2_llT3_lli
                                        ; -- End function
	.set _ZL22rocblas_saxpy_2_kernelILi256EfDF16_PKPKDF16_PKPDF16_EviT1_lT2_llT3_lli.num_vgpr, 10
	.set _ZL22rocblas_saxpy_2_kernelILi256EfDF16_PKPKDF16_PKPDF16_EviT1_lT2_llT3_lli.num_agpr, 0
	.set _ZL22rocblas_saxpy_2_kernelILi256EfDF16_PKPKDF16_PKPDF16_EviT1_lT2_llT3_lli.numbered_sgpr, 16
	.set _ZL22rocblas_saxpy_2_kernelILi256EfDF16_PKPKDF16_PKPDF16_EviT1_lT2_llT3_lli.num_named_barrier, 0
	.set _ZL22rocblas_saxpy_2_kernelILi256EfDF16_PKPKDF16_PKPDF16_EviT1_lT2_llT3_lli.private_seg_size, 0
	.set _ZL22rocblas_saxpy_2_kernelILi256EfDF16_PKPKDF16_PKPDF16_EviT1_lT2_llT3_lli.uses_vcc, 1
	.set _ZL22rocblas_saxpy_2_kernelILi256EfDF16_PKPKDF16_PKPDF16_EviT1_lT2_llT3_lli.uses_flat_scratch, 0
	.set _ZL22rocblas_saxpy_2_kernelILi256EfDF16_PKPKDF16_PKPDF16_EviT1_lT2_llT3_lli.has_dyn_sized_stack, 0
	.set _ZL22rocblas_saxpy_2_kernelILi256EfDF16_PKPKDF16_PKPDF16_EviT1_lT2_llT3_lli.has_recursion, 0
	.set _ZL22rocblas_saxpy_2_kernelILi256EfDF16_PKPKDF16_PKPDF16_EviT1_lT2_llT3_lli.has_indirect_call, 0
	.section	.AMDGPU.csdata,"",@progbits
; Kernel info:
; codeLenInByte = 352
; TotalNumSgprs: 20
; NumVgprs: 10
; ScratchSize: 0
; MemoryBound: 0
; FloatMode: 240
; IeeeMode: 1
; LDSByteSize: 0 bytes/workgroup (compile time only)
; SGPRBlocks: 2
; VGPRBlocks: 2
; NumSGPRsForWavesPerEU: 20
; NumVGPRsForWavesPerEU: 10
; Occupancy: 10
; WaveLimiterHint : 1
; COMPUTE_PGM_RSRC2:SCRATCH_EN: 0
; COMPUTE_PGM_RSRC2:USER_SGPR: 6
; COMPUTE_PGM_RSRC2:TRAP_HANDLER: 0
; COMPUTE_PGM_RSRC2:TGID_X_EN: 1
; COMPUTE_PGM_RSRC2:TGID_Y_EN: 0
; COMPUTE_PGM_RSRC2:TGID_Z_EN: 1
; COMPUTE_PGM_RSRC2:TIDIG_COMP_CNT: 0
	.section	.text._ZL27rocblas_axpy_kernel_batchedIiLi128ELi8EfPKDF16_PKS1_PKPDF16_EviT3_lT4_lT_lT5_lS9_li,"axG",@progbits,_ZL27rocblas_axpy_kernel_batchedIiLi128ELi8EfPKDF16_PKS1_PKPDF16_EviT3_lT4_lT_lT5_lS9_li,comdat
	.globl	_ZL27rocblas_axpy_kernel_batchedIiLi128ELi8EfPKDF16_PKS1_PKPDF16_EviT3_lT4_lT_lT5_lS9_li ; -- Begin function _ZL27rocblas_axpy_kernel_batchedIiLi128ELi8EfPKDF16_PKS1_PKPDF16_EviT3_lT4_lT_lT5_lS9_li
	.p2align	8
	.type	_ZL27rocblas_axpy_kernel_batchedIiLi128ELi8EfPKDF16_PKS1_PKPDF16_EviT3_lT4_lT_lT5_lS9_li,@function
_ZL27rocblas_axpy_kernel_batchedIiLi128ELi8EfPKDF16_PKS1_PKPDF16_EviT3_lT4_lT_lT5_lS9_li: ; @_ZL27rocblas_axpy_kernel_batchedIiLi128ELi8EfPKDF16_PKS1_PKPDF16_EviT3_lT4_lT_lT5_lS9_li
; %bb.0:
	s_load_dword s0, s[4:5], 0x0
	v_lshl_add_u32 v6, s6, 7, v0
	v_mov_b32_e32 v7, 0
	s_waitcnt lgkmcnt(0)
	s_ashr_i32 s1, s0, 31
	v_cmp_gt_i64_e32 vcc, s[0:1], v[6:7]
	s_and_saveexec_b64 s[0:1], vcc
	s_cbranch_execz .LBB152_13
; %bb.1:
	s_load_dword s16, s[4:5], 0x28
	s_load_dwordx8 s[8:15], s[4:5], 0x8
	s_load_dwordx4 s[0:3], s[4:5], 0x38
	s_load_dword s17, s[4:5], 0x48
	s_load_dword s6, s[4:5], 0x58
	s_waitcnt lgkmcnt(0)
	v_mad_u64_u32 v[2:3], s[4:5], s16, v6, 0
	s_ashr_i32 s18, s16, 31
	v_mad_u64_u32 v[4:5], s[4:5], s17, v6, 0
	v_mov_b32_e32 v0, v3
	s_ashr_i32 s16, s17, 31
	v_mad_u64_u32 v[7:8], s[4:5], s18, v6, v[0:1]
	v_mov_b32_e32 v0, v5
	v_mad_u64_u32 v[5:6], s[4:5], s16, v6, v[0:1]
	v_lshlrev_b32_e32 v0, 2, v1
	v_lshl_add_u32 v0, s7, 5, v0
	v_mov_b32_e32 v3, v7
	v_cmp_gt_u32_e32 vcc, s6, v0
	s_and_saveexec_b64 s[4:5], vcc
	s_cbranch_execz .LBB152_4
; %bb.2:
	v_mad_u64_u32 v[6:7], s[16:17], s10, v0, 0
	v_mov_b32_e32 v1, v7
	v_mad_u64_u32 v[7:8], s[16:17], s11, v0, v[1:2]
	v_mov_b32_e32 v1, s9
	v_lshlrev_b64 v[6:7], 1, v[6:7]
	v_add_co_u32_e32 v6, vcc, s8, v6
	v_addc_co_u32_e32 v7, vcc, v1, v7, vcc
	global_load_ushort v6, v[6:7], off
	s_waitcnt vmcnt(0)
	v_cmp_neq_f16_e32 vcc, 0, v6
	s_and_b64 exec, exec, vcc
	s_cbranch_execz .LBB152_4
; %bb.3:
	v_mov_b32_e32 v1, 0
	v_lshlrev_b64 v[7:8], 3, v[0:1]
	v_mov_b32_e32 v1, s13
	v_add_co_u32_e32 v9, vcc, s12, v7
	v_addc_co_u32_e32 v10, vcc, v1, v8, vcc
	global_load_dwordx2 v[9:10], v[9:10], off
	v_mov_b32_e32 v1, s1
	v_add_co_u32_e32 v7, vcc, s0, v7
	v_addc_co_u32_e32 v8, vcc, v1, v8, vcc
	global_load_dwordx2 v[7:8], v[7:8], off
	s_lshl_b64 s[16:17], s[14:15], 1
	v_mov_b32_e32 v1, s17
	s_lshl_b64 s[18:19], s[2:3], 1
	v_lshlrev_b64 v[11:12], 1, v[2:3]
	v_mov_b32_e32 v15, s19
	v_lshlrev_b64 v[13:14], 1, v[4:5]
	s_waitcnt vmcnt(1)
	v_add_co_u32_e32 v9, vcc, s16, v9
	v_addc_co_u32_e32 v1, vcc, v10, v1, vcc
	s_waitcnt vmcnt(0)
	v_add_co_u32_e32 v10, vcc, s18, v7
	v_addc_co_u32_e32 v15, vcc, v8, v15, vcc
	v_add_co_u32_e32 v7, vcc, v9, v11
	v_addc_co_u32_e32 v8, vcc, v1, v12, vcc
	v_add_co_u32_e32 v9, vcc, v10, v13
	v_addc_co_u32_e32 v10, vcc, v15, v14, vcc
	flat_load_ushort v1, v[9:10]
	flat_load_ushort v11, v[7:8]
	s_waitcnt vmcnt(0) lgkmcnt(0)
	v_fma_mixlo_f16 v1, v6, v11, v1 op_sel_hi:[1,1,1]
	flat_store_short v[9:10], v1
.LBB152_4:
	s_or_b64 exec, exec, s[4:5]
	v_or_b32_e32 v1, 1, v0
	v_cmp_gt_u32_e32 vcc, s6, v1
	s_and_saveexec_b64 s[4:5], vcc
	s_cbranch_execz .LBB152_7
; %bb.5:
	v_mad_u64_u32 v[6:7], s[16:17], s10, v1, 0
	v_mad_u64_u32 v[7:8], s[16:17], s11, v1, v[7:8]
	v_mov_b32_e32 v1, s9
	v_lshlrev_b64 v[6:7], 1, v[6:7]
	v_add_co_u32_e32 v6, vcc, s8, v6
	v_addc_co_u32_e32 v7, vcc, v1, v7, vcc
	global_load_ushort v6, v[6:7], off
	s_waitcnt vmcnt(0)
	v_cmp_neq_f16_e32 vcc, 0, v6
	s_and_b64 exec, exec, vcc
	s_cbranch_execz .LBB152_7
; %bb.6:
	v_mov_b32_e32 v1, 0
	v_lshlrev_b64 v[7:8], 3, v[0:1]
	v_mov_b32_e32 v1, s13
	v_add_co_u32_e32 v9, vcc, s12, v7
	v_addc_co_u32_e32 v10, vcc, v1, v8, vcc
	global_load_dwordx2 v[9:10], v[9:10], off offset:8
	v_mov_b32_e32 v1, s1
	v_add_co_u32_e32 v7, vcc, s0, v7
	v_addc_co_u32_e32 v8, vcc, v1, v8, vcc
	global_load_dwordx2 v[7:8], v[7:8], off offset:8
	s_lshl_b64 s[16:17], s[14:15], 1
	v_mov_b32_e32 v1, s17
	s_lshl_b64 s[18:19], s[2:3], 1
	v_lshlrev_b64 v[11:12], 1, v[2:3]
	v_mov_b32_e32 v15, s19
	v_lshlrev_b64 v[13:14], 1, v[4:5]
	s_waitcnt vmcnt(0)
	v_add_co_u32_e32 v9, vcc, s16, v9
	v_addc_co_u32_e32 v1, vcc, v10, v1, vcc
	v_add_co_u32_e32 v10, vcc, s18, v7
	v_addc_co_u32_e32 v15, vcc, v8, v15, vcc
	;; [unrolled: 2-line block ×4, first 2 shown]
	flat_load_ushort v1, v[9:10]
	flat_load_ushort v11, v[7:8]
	s_waitcnt vmcnt(0) lgkmcnt(0)
	v_fma_mixlo_f16 v1, v6, v11, v1 op_sel_hi:[1,1,1]
	flat_store_short v[9:10], v1
.LBB152_7:
	s_or_b64 exec, exec, s[4:5]
	v_or_b32_e32 v1, 2, v0
	v_cmp_gt_u32_e32 vcc, s6, v1
	s_and_saveexec_b64 s[4:5], vcc
	s_cbranch_execz .LBB152_10
; %bb.8:
	v_mad_u64_u32 v[6:7], s[16:17], s10, v1, 0
	v_mad_u64_u32 v[7:8], s[16:17], s11, v1, v[7:8]
	v_mov_b32_e32 v1, s9
	v_lshlrev_b64 v[6:7], 1, v[6:7]
	v_add_co_u32_e32 v6, vcc, s8, v6
	v_addc_co_u32_e32 v7, vcc, v1, v7, vcc
	global_load_ushort v6, v[6:7], off
	s_waitcnt vmcnt(0)
	v_cmp_neq_f16_e32 vcc, 0, v6
	s_and_b64 exec, exec, vcc
	s_cbranch_execz .LBB152_10
; %bb.9:
	v_mov_b32_e32 v1, 0
	v_lshlrev_b64 v[7:8], 3, v[0:1]
	v_mov_b32_e32 v1, s13
	v_add_co_u32_e32 v9, vcc, s12, v7
	v_addc_co_u32_e32 v10, vcc, v1, v8, vcc
	global_load_dwordx2 v[9:10], v[9:10], off offset:16
	v_mov_b32_e32 v1, s1
	v_add_co_u32_e32 v7, vcc, s0, v7
	v_addc_co_u32_e32 v8, vcc, v1, v8, vcc
	global_load_dwordx2 v[7:8], v[7:8], off offset:16
	s_lshl_b64 s[16:17], s[14:15], 1
	v_mov_b32_e32 v1, s17
	s_lshl_b64 s[18:19], s[2:3], 1
	v_lshlrev_b64 v[11:12], 1, v[2:3]
	v_mov_b32_e32 v15, s19
	v_lshlrev_b64 v[13:14], 1, v[4:5]
	s_waitcnt vmcnt(0)
	v_add_co_u32_e32 v9, vcc, s16, v9
	v_addc_co_u32_e32 v1, vcc, v10, v1, vcc
	v_add_co_u32_e32 v10, vcc, s18, v7
	v_addc_co_u32_e32 v15, vcc, v8, v15, vcc
	;; [unrolled: 2-line block ×4, first 2 shown]
	flat_load_ushort v1, v[9:10]
	flat_load_ushort v11, v[7:8]
	s_waitcnt vmcnt(0) lgkmcnt(0)
	v_fma_mixlo_f16 v1, v6, v11, v1 op_sel_hi:[1,1,1]
	flat_store_short v[9:10], v1
.LBB152_10:
	s_or_b64 exec, exec, s[4:5]
	v_or_b32_e32 v1, 3, v0
	v_cmp_gt_u32_e32 vcc, s6, v1
	s_and_b64 exec, exec, vcc
	s_cbranch_execz .LBB152_13
; %bb.11:
	v_mad_u64_u32 v[6:7], s[4:5], s10, v1, 0
	v_mad_u64_u32 v[7:8], s[4:5], s11, v1, v[7:8]
	v_mov_b32_e32 v1, s9
	v_lshlrev_b64 v[6:7], 1, v[6:7]
	v_add_co_u32_e32 v6, vcc, s8, v6
	v_addc_co_u32_e32 v7, vcc, v1, v7, vcc
	global_load_ushort v6, v[6:7], off
	s_waitcnt vmcnt(0)
	v_cmp_neq_f16_e32 vcc, 0, v6
	s_and_b64 exec, exec, vcc
	s_cbranch_execz .LBB152_13
; %bb.12:
	v_mov_b32_e32 v1, 0
	v_lshlrev_b64 v[0:1], 3, v[0:1]
	v_mov_b32_e32 v8, s13
	v_add_co_u32_e32 v7, vcc, s12, v0
	v_addc_co_u32_e32 v8, vcc, v8, v1, vcc
	global_load_dwordx2 v[7:8], v[7:8], off offset:24
	v_mov_b32_e32 v9, s1
	v_add_co_u32_e32 v0, vcc, s0, v0
	v_addc_co_u32_e32 v1, vcc, v9, v1, vcc
	global_load_dwordx2 v[0:1], v[0:1], off offset:24
	s_lshl_b64 s[0:1], s[14:15], 1
	v_mov_b32_e32 v9, s1
	s_lshl_b64 s[2:3], s[2:3], 1
	v_lshlrev_b64 v[2:3], 1, v[2:3]
	v_mov_b32_e32 v10, s3
	v_lshlrev_b64 v[4:5], 1, v[4:5]
	s_waitcnt vmcnt(0)
	v_add_co_u32_e32 v7, vcc, s0, v7
	v_addc_co_u32_e32 v8, vcc, v8, v9, vcc
	v_add_co_u32_e32 v9, vcc, s2, v0
	v_addc_co_u32_e32 v10, vcc, v1, v10, vcc
	;; [unrolled: 2-line block ×4, first 2 shown]
	flat_load_ushort v4, v[2:3]
	flat_load_ushort v5, v[0:1]
	s_waitcnt vmcnt(0) lgkmcnt(0)
	v_fma_mixlo_f16 v0, v6, v5, v4 op_sel_hi:[1,1,1]
	flat_store_short v[2:3], v0
.LBB152_13:
	s_endpgm
	.section	.rodata,"a",@progbits
	.p2align	6, 0x0
	.amdhsa_kernel _ZL27rocblas_axpy_kernel_batchedIiLi128ELi8EfPKDF16_PKS1_PKPDF16_EviT3_lT4_lT_lT5_lS9_li
		.amdhsa_group_segment_fixed_size 0
		.amdhsa_private_segment_fixed_size 0
		.amdhsa_kernarg_size 92
		.amdhsa_user_sgpr_count 6
		.amdhsa_user_sgpr_private_segment_buffer 1
		.amdhsa_user_sgpr_dispatch_ptr 0
		.amdhsa_user_sgpr_queue_ptr 0
		.amdhsa_user_sgpr_kernarg_segment_ptr 1
		.amdhsa_user_sgpr_dispatch_id 0
		.amdhsa_user_sgpr_flat_scratch_init 0
		.amdhsa_user_sgpr_private_segment_size 0
		.amdhsa_uses_dynamic_stack 0
		.amdhsa_system_sgpr_private_segment_wavefront_offset 0
		.amdhsa_system_sgpr_workgroup_id_x 1
		.amdhsa_system_sgpr_workgroup_id_y 0
		.amdhsa_system_sgpr_workgroup_id_z 1
		.amdhsa_system_sgpr_workgroup_info 0
		.amdhsa_system_vgpr_workitem_id 1
		.amdhsa_next_free_vgpr 16
		.amdhsa_next_free_sgpr 20
		.amdhsa_reserve_vcc 1
		.amdhsa_reserve_flat_scratch 0
		.amdhsa_float_round_mode_32 0
		.amdhsa_float_round_mode_16_64 0
		.amdhsa_float_denorm_mode_32 3
		.amdhsa_float_denorm_mode_16_64 3
		.amdhsa_dx10_clamp 1
		.amdhsa_ieee_mode 1
		.amdhsa_fp16_overflow 0
		.amdhsa_exception_fp_ieee_invalid_op 0
		.amdhsa_exception_fp_denorm_src 0
		.amdhsa_exception_fp_ieee_div_zero 0
		.amdhsa_exception_fp_ieee_overflow 0
		.amdhsa_exception_fp_ieee_underflow 0
		.amdhsa_exception_fp_ieee_inexact 0
		.amdhsa_exception_int_div_zero 0
	.end_amdhsa_kernel
	.section	.text._ZL27rocblas_axpy_kernel_batchedIiLi128ELi8EfPKDF16_PKS1_PKPDF16_EviT3_lT4_lT_lT5_lS9_li,"axG",@progbits,_ZL27rocblas_axpy_kernel_batchedIiLi128ELi8EfPKDF16_PKS1_PKPDF16_EviT3_lT4_lT_lT5_lS9_li,comdat
.Lfunc_end152:
	.size	_ZL27rocblas_axpy_kernel_batchedIiLi128ELi8EfPKDF16_PKS1_PKPDF16_EviT3_lT4_lT_lT5_lS9_li, .Lfunc_end152-_ZL27rocblas_axpy_kernel_batchedIiLi128ELi8EfPKDF16_PKS1_PKPDF16_EviT3_lT4_lT_lT5_lS9_li
                                        ; -- End function
	.set _ZL27rocblas_axpy_kernel_batchedIiLi128ELi8EfPKDF16_PKS1_PKPDF16_EviT3_lT4_lT_lT5_lS9_li.num_vgpr, 16
	.set _ZL27rocblas_axpy_kernel_batchedIiLi128ELi8EfPKDF16_PKS1_PKPDF16_EviT3_lT4_lT_lT5_lS9_li.num_agpr, 0
	.set _ZL27rocblas_axpy_kernel_batchedIiLi128ELi8EfPKDF16_PKS1_PKPDF16_EviT3_lT4_lT_lT5_lS9_li.numbered_sgpr, 20
	.set _ZL27rocblas_axpy_kernel_batchedIiLi128ELi8EfPKDF16_PKS1_PKPDF16_EviT3_lT4_lT_lT5_lS9_li.num_named_barrier, 0
	.set _ZL27rocblas_axpy_kernel_batchedIiLi128ELi8EfPKDF16_PKS1_PKPDF16_EviT3_lT4_lT_lT5_lS9_li.private_seg_size, 0
	.set _ZL27rocblas_axpy_kernel_batchedIiLi128ELi8EfPKDF16_PKS1_PKPDF16_EviT3_lT4_lT_lT5_lS9_li.uses_vcc, 1
	.set _ZL27rocblas_axpy_kernel_batchedIiLi128ELi8EfPKDF16_PKS1_PKPDF16_EviT3_lT4_lT_lT5_lS9_li.uses_flat_scratch, 0
	.set _ZL27rocblas_axpy_kernel_batchedIiLi128ELi8EfPKDF16_PKS1_PKPDF16_EviT3_lT4_lT_lT5_lS9_li.has_dyn_sized_stack, 0
	.set _ZL27rocblas_axpy_kernel_batchedIiLi128ELi8EfPKDF16_PKS1_PKPDF16_EviT3_lT4_lT_lT5_lS9_li.has_recursion, 0
	.set _ZL27rocblas_axpy_kernel_batchedIiLi128ELi8EfPKDF16_PKS1_PKPDF16_EviT3_lT4_lT_lT5_lS9_li.has_indirect_call, 0
	.section	.AMDGPU.csdata,"",@progbits
; Kernel info:
; codeLenInByte = 1096
; TotalNumSgprs: 24
; NumVgprs: 16
; ScratchSize: 0
; MemoryBound: 0
; FloatMode: 240
; IeeeMode: 1
; LDSByteSize: 0 bytes/workgroup (compile time only)
; SGPRBlocks: 2
; VGPRBlocks: 3
; NumSGPRsForWavesPerEU: 24
; NumVGPRsForWavesPerEU: 16
; Occupancy: 10
; WaveLimiterHint : 1
; COMPUTE_PGM_RSRC2:SCRATCH_EN: 0
; COMPUTE_PGM_RSRC2:USER_SGPR: 6
; COMPUTE_PGM_RSRC2:TRAP_HANDLER: 0
; COMPUTE_PGM_RSRC2:TGID_X_EN: 1
; COMPUTE_PGM_RSRC2:TGID_Y_EN: 0
; COMPUTE_PGM_RSRC2:TGID_Z_EN: 1
; COMPUTE_PGM_RSRC2:TIDIG_COMP_CNT: 1
	.section	.text._ZL27rocblas_axpy_kernel_batchedIiLi128ELi8EfDF16_PKPKDF16_PKPDF16_EviT3_lT4_lT_lT5_lS9_li,"axG",@progbits,_ZL27rocblas_axpy_kernel_batchedIiLi128ELi8EfDF16_PKPKDF16_PKPDF16_EviT3_lT4_lT_lT5_lS9_li,comdat
	.globl	_ZL27rocblas_axpy_kernel_batchedIiLi128ELi8EfDF16_PKPKDF16_PKPDF16_EviT3_lT4_lT_lT5_lS9_li ; -- Begin function _ZL27rocblas_axpy_kernel_batchedIiLi128ELi8EfDF16_PKPKDF16_PKPDF16_EviT3_lT4_lT_lT5_lS9_li
	.p2align	8
	.type	_ZL27rocblas_axpy_kernel_batchedIiLi128ELi8EfDF16_PKPKDF16_PKPDF16_EviT3_lT4_lT_lT5_lS9_li,@function
_ZL27rocblas_axpy_kernel_batchedIiLi128ELi8EfDF16_PKPKDF16_PKPDF16_EviT3_lT4_lT_lT5_lS9_li: ; @_ZL27rocblas_axpy_kernel_batchedIiLi128ELi8EfDF16_PKPKDF16_PKPDF16_EviT3_lT4_lT_lT5_lS9_li
; %bb.0:
	s_load_dwordx2 s[12:13], s[4:5], 0x0
	v_lshl_add_u32 v2, s6, 7, v0
	v_mov_b32_e32 v3, 0
	s_waitcnt lgkmcnt(0)
	s_ashr_i32 s1, s12, 31
	s_mov_b32 s0, s12
	v_cmp_gt_i64_e32 vcc, s[0:1], v[2:3]
	s_and_saveexec_b64 s[0:1], vcc
	s_cbranch_execz .LBB153_9
; %bb.1:
	s_load_dword s6, s[4:5], 0x20
	s_load_dwordx4 s[0:3], s[4:5], 0x10
	s_load_dwordx4 s[8:11], s[4:5], 0x30
	s_load_dword s14, s[4:5], 0x40
	s_load_dword s12, s[4:5], 0x50
	s_waitcnt lgkmcnt(0)
	v_mad_u64_u32 v[7:8], s[4:5], s6, v2, 0
	s_ashr_i32 s15, s6, 31
	v_mad_u64_u32 v[9:10], s[4:5], s14, v2, 0
	v_mov_b32_e32 v0, v8
	s_ashr_i32 s6, s14, 31
	v_mad_u64_u32 v[3:4], s[4:5], s15, v2, v[0:1]
	v_mov_b32_e32 v0, v10
	v_mad_u64_u32 v[5:6], s[4:5], s6, v2, v[0:1]
	v_lshlrev_b32_e32 v0, 2, v1
	v_cvt_f32_f16_e32 v6, s13
	v_lshl_add_u32 v4, s7, 5, v0
	v_mov_b32_e32 v8, v3
	v_mov_b32_e32 v10, v5
	v_cmp_neq_f16_e64 s[4:5], s13, 0
	v_cmp_gt_u32_e32 vcc, s12, v4
	v_lshlrev_b64 v[2:3], 1, v[7:8]
	v_lshlrev_b64 v[0:1], 1, v[9:10]
	s_and_b64 s[14:15], s[4:5], vcc
	s_and_saveexec_b64 s[6:7], s[14:15]
	s_cbranch_execz .LBB153_3
; %bb.2:
	v_mov_b32_e32 v5, 0
	v_lshlrev_b64 v[7:8], 3, v[4:5]
	v_mov_b32_e32 v5, s1
	v_add_co_u32_e32 v9, vcc, s0, v7
	v_addc_co_u32_e32 v10, vcc, v5, v8, vcc
	global_load_dwordx2 v[9:10], v[9:10], off
	v_mov_b32_e32 v5, s9
	v_add_co_u32_e32 v7, vcc, s8, v7
	v_addc_co_u32_e32 v8, vcc, v5, v8, vcc
	global_load_dwordx2 v[7:8], v[7:8], off
	s_lshl_b64 s[14:15], s[2:3], 1
	v_mov_b32_e32 v5, s15
	s_lshl_b64 s[16:17], s[10:11], 1
	v_mov_b32_e32 v11, s17
	s_waitcnt vmcnt(1)
	v_add_co_u32_e32 v9, vcc, s14, v9
	v_addc_co_u32_e32 v5, vcc, v10, v5, vcc
	s_waitcnt vmcnt(0)
	v_add_co_u32_e32 v10, vcc, s16, v7
	v_addc_co_u32_e32 v11, vcc, v8, v11, vcc
	v_add_co_u32_e32 v7, vcc, v9, v2
	v_addc_co_u32_e32 v8, vcc, v5, v3, vcc
	;; [unrolled: 2-line block ×3, first 2 shown]
	flat_load_ushort v5, v[9:10]
	flat_load_ushort v11, v[7:8]
	s_waitcnt vmcnt(0) lgkmcnt(0)
	v_fma_mixlo_f16 v5, v6, v11, v5 op_sel_hi:[0,1,1]
	flat_store_short v[9:10], v5
.LBB153_3:
	s_or_b64 exec, exec, s[6:7]
	v_or_b32_e32 v5, 1, v4
	v_cmp_gt_u32_e32 vcc, s12, v5
	s_and_b64 s[14:15], s[4:5], vcc
	s_and_saveexec_b64 s[6:7], s[14:15]
	s_cbranch_execz .LBB153_5
; %bb.4:
	v_mov_b32_e32 v5, 0
	v_lshlrev_b64 v[7:8], 3, v[4:5]
	v_mov_b32_e32 v5, s1
	v_add_co_u32_e32 v9, vcc, s0, v7
	v_addc_co_u32_e32 v10, vcc, v5, v8, vcc
	global_load_dwordx2 v[9:10], v[9:10], off offset:8
	v_mov_b32_e32 v5, s9
	v_add_co_u32_e32 v7, vcc, s8, v7
	v_addc_co_u32_e32 v8, vcc, v5, v8, vcc
	global_load_dwordx2 v[7:8], v[7:8], off offset:8
	s_lshl_b64 s[14:15], s[2:3], 1
	v_mov_b32_e32 v5, s15
	s_lshl_b64 s[16:17], s[10:11], 1
	v_mov_b32_e32 v11, s17
	s_waitcnt vmcnt(0)
	v_add_co_u32_e32 v9, vcc, s14, v9
	v_addc_co_u32_e32 v5, vcc, v10, v5, vcc
	v_add_co_u32_e32 v10, vcc, s16, v7
	v_addc_co_u32_e32 v11, vcc, v8, v11, vcc
	;; [unrolled: 2-line block ×4, first 2 shown]
	flat_load_ushort v5, v[9:10]
	flat_load_ushort v11, v[7:8]
	s_waitcnt vmcnt(0) lgkmcnt(0)
	v_fma_mixlo_f16 v5, v6, v11, v5 op_sel_hi:[0,1,1]
	flat_store_short v[9:10], v5
.LBB153_5:
	s_or_b64 exec, exec, s[6:7]
	v_or_b32_e32 v5, 2, v4
	v_cmp_gt_u32_e32 vcc, s12, v5
	s_and_b64 s[14:15], s[4:5], vcc
	s_and_saveexec_b64 s[6:7], s[14:15]
	s_cbranch_execz .LBB153_7
; %bb.6:
	v_mov_b32_e32 v5, 0
	v_lshlrev_b64 v[7:8], 3, v[4:5]
	v_mov_b32_e32 v5, s1
	v_add_co_u32_e32 v9, vcc, s0, v7
	v_addc_co_u32_e32 v10, vcc, v5, v8, vcc
	global_load_dwordx2 v[9:10], v[9:10], off offset:16
	v_mov_b32_e32 v5, s9
	v_add_co_u32_e32 v7, vcc, s8, v7
	v_addc_co_u32_e32 v8, vcc, v5, v8, vcc
	global_load_dwordx2 v[7:8], v[7:8], off offset:16
	s_lshl_b64 s[14:15], s[2:3], 1
	v_mov_b32_e32 v5, s15
	s_lshl_b64 s[16:17], s[10:11], 1
	v_mov_b32_e32 v11, s17
	s_waitcnt vmcnt(0)
	v_add_co_u32_e32 v9, vcc, s14, v9
	v_addc_co_u32_e32 v5, vcc, v10, v5, vcc
	v_add_co_u32_e32 v10, vcc, s16, v7
	v_addc_co_u32_e32 v11, vcc, v8, v11, vcc
	;; [unrolled: 2-line block ×4, first 2 shown]
	flat_load_ushort v5, v[9:10]
	flat_load_ushort v11, v[7:8]
	s_waitcnt vmcnt(0) lgkmcnt(0)
	v_fma_mixlo_f16 v5, v6, v11, v5 op_sel_hi:[0,1,1]
	flat_store_short v[9:10], v5
.LBB153_7:
	s_or_b64 exec, exec, s[6:7]
	v_or_b32_e32 v5, 3, v4
	v_cmp_gt_u32_e32 vcc, s12, v5
	s_and_b64 s[4:5], s[4:5], vcc
	s_and_b64 exec, exec, s[4:5]
	s_cbranch_execz .LBB153_9
; %bb.8:
	v_mov_b32_e32 v5, 0
	v_lshlrev_b64 v[4:5], 3, v[4:5]
	v_mov_b32_e32 v8, s1
	v_add_co_u32_e32 v7, vcc, s0, v4
	v_addc_co_u32_e32 v8, vcc, v8, v5, vcc
	global_load_dwordx2 v[7:8], v[7:8], off offset:24
	v_mov_b32_e32 v9, s9
	v_add_co_u32_e32 v4, vcc, s8, v4
	v_addc_co_u32_e32 v5, vcc, v9, v5, vcc
	global_load_dwordx2 v[4:5], v[4:5], off offset:24
	s_lshl_b64 s[0:1], s[2:3], 1
	v_mov_b32_e32 v9, s1
	s_lshl_b64 s[2:3], s[10:11], 1
	v_mov_b32_e32 v10, s3
	s_waitcnt vmcnt(0)
	v_add_co_u32_e32 v7, vcc, s0, v7
	v_addc_co_u32_e32 v8, vcc, v8, v9, vcc
	v_add_co_u32_e32 v4, vcc, s2, v4
	v_addc_co_u32_e32 v5, vcc, v5, v10, vcc
	;; [unrolled: 2-line block ×4, first 2 shown]
	flat_load_ushort v4, v[0:1]
	flat_load_ushort v5, v[2:3]
	s_waitcnt vmcnt(0) lgkmcnt(0)
	v_fma_mixlo_f16 v2, v6, v5, v4 op_sel_hi:[0,1,1]
	flat_store_short v[0:1], v2
.LBB153_9:
	s_endpgm
	.section	.rodata,"a",@progbits
	.p2align	6, 0x0
	.amdhsa_kernel _ZL27rocblas_axpy_kernel_batchedIiLi128ELi8EfDF16_PKPKDF16_PKPDF16_EviT3_lT4_lT_lT5_lS9_li
		.amdhsa_group_segment_fixed_size 0
		.amdhsa_private_segment_fixed_size 0
		.amdhsa_kernarg_size 84
		.amdhsa_user_sgpr_count 6
		.amdhsa_user_sgpr_private_segment_buffer 1
		.amdhsa_user_sgpr_dispatch_ptr 0
		.amdhsa_user_sgpr_queue_ptr 0
		.amdhsa_user_sgpr_kernarg_segment_ptr 1
		.amdhsa_user_sgpr_dispatch_id 0
		.amdhsa_user_sgpr_flat_scratch_init 0
		.amdhsa_user_sgpr_private_segment_size 0
		.amdhsa_uses_dynamic_stack 0
		.amdhsa_system_sgpr_private_segment_wavefront_offset 0
		.amdhsa_system_sgpr_workgroup_id_x 1
		.amdhsa_system_sgpr_workgroup_id_y 0
		.amdhsa_system_sgpr_workgroup_id_z 1
		.amdhsa_system_sgpr_workgroup_info 0
		.amdhsa_system_vgpr_workitem_id 1
		.amdhsa_next_free_vgpr 12
		.amdhsa_next_free_sgpr 18
		.amdhsa_reserve_vcc 1
		.amdhsa_reserve_flat_scratch 0
		.amdhsa_float_round_mode_32 0
		.amdhsa_float_round_mode_16_64 0
		.amdhsa_float_denorm_mode_32 3
		.amdhsa_float_denorm_mode_16_64 3
		.amdhsa_dx10_clamp 1
		.amdhsa_ieee_mode 1
		.amdhsa_fp16_overflow 0
		.amdhsa_exception_fp_ieee_invalid_op 0
		.amdhsa_exception_fp_denorm_src 0
		.amdhsa_exception_fp_ieee_div_zero 0
		.amdhsa_exception_fp_ieee_overflow 0
		.amdhsa_exception_fp_ieee_underflow 0
		.amdhsa_exception_fp_ieee_inexact 0
		.amdhsa_exception_int_div_zero 0
	.end_amdhsa_kernel
	.section	.text._ZL27rocblas_axpy_kernel_batchedIiLi128ELi8EfDF16_PKPKDF16_PKPDF16_EviT3_lT4_lT_lT5_lS9_li,"axG",@progbits,_ZL27rocblas_axpy_kernel_batchedIiLi128ELi8EfDF16_PKPKDF16_PKPDF16_EviT3_lT4_lT_lT5_lS9_li,comdat
.Lfunc_end153:
	.size	_ZL27rocblas_axpy_kernel_batchedIiLi128ELi8EfDF16_PKPKDF16_PKPDF16_EviT3_lT4_lT_lT5_lS9_li, .Lfunc_end153-_ZL27rocblas_axpy_kernel_batchedIiLi128ELi8EfDF16_PKPKDF16_PKPDF16_EviT3_lT4_lT_lT5_lS9_li
                                        ; -- End function
	.set _ZL27rocblas_axpy_kernel_batchedIiLi128ELi8EfDF16_PKPKDF16_PKPDF16_EviT3_lT4_lT_lT5_lS9_li.num_vgpr, 12
	.set _ZL27rocblas_axpy_kernel_batchedIiLi128ELi8EfDF16_PKPKDF16_PKPDF16_EviT3_lT4_lT_lT5_lS9_li.num_agpr, 0
	.set _ZL27rocblas_axpy_kernel_batchedIiLi128ELi8EfDF16_PKPKDF16_PKPDF16_EviT3_lT4_lT_lT5_lS9_li.numbered_sgpr, 18
	.set _ZL27rocblas_axpy_kernel_batchedIiLi128ELi8EfDF16_PKPKDF16_PKPDF16_EviT3_lT4_lT_lT5_lS9_li.num_named_barrier, 0
	.set _ZL27rocblas_axpy_kernel_batchedIiLi128ELi8EfDF16_PKPKDF16_PKPDF16_EviT3_lT4_lT_lT5_lS9_li.private_seg_size, 0
	.set _ZL27rocblas_axpy_kernel_batchedIiLi128ELi8EfDF16_PKPKDF16_PKPDF16_EviT3_lT4_lT_lT5_lS9_li.uses_vcc, 1
	.set _ZL27rocblas_axpy_kernel_batchedIiLi128ELi8EfDF16_PKPKDF16_PKPDF16_EviT3_lT4_lT_lT5_lS9_li.uses_flat_scratch, 0
	.set _ZL27rocblas_axpy_kernel_batchedIiLi128ELi8EfDF16_PKPKDF16_PKPDF16_EviT3_lT4_lT_lT5_lS9_li.has_dyn_sized_stack, 0
	.set _ZL27rocblas_axpy_kernel_batchedIiLi128ELi8EfDF16_PKPKDF16_PKPDF16_EviT3_lT4_lT_lT5_lS9_li.has_recursion, 0
	.set _ZL27rocblas_axpy_kernel_batchedIiLi128ELi8EfDF16_PKPKDF16_PKPDF16_EviT3_lT4_lT_lT5_lS9_li.has_indirect_call, 0
	.section	.AMDGPU.csdata,"",@progbits
; Kernel info:
; codeLenInByte = 840
; TotalNumSgprs: 22
; NumVgprs: 12
; ScratchSize: 0
; MemoryBound: 0
; FloatMode: 240
; IeeeMode: 1
; LDSByteSize: 0 bytes/workgroup (compile time only)
; SGPRBlocks: 2
; VGPRBlocks: 2
; NumSGPRsForWavesPerEU: 22
; NumVGPRsForWavesPerEU: 12
; Occupancy: 10
; WaveLimiterHint : 1
; COMPUTE_PGM_RSRC2:SCRATCH_EN: 0
; COMPUTE_PGM_RSRC2:USER_SGPR: 6
; COMPUTE_PGM_RSRC2:TRAP_HANDLER: 0
; COMPUTE_PGM_RSRC2:TGID_X_EN: 1
; COMPUTE_PGM_RSRC2:TGID_Y_EN: 0
; COMPUTE_PGM_RSRC2:TGID_Z_EN: 1
; COMPUTE_PGM_RSRC2:TIDIG_COMP_CNT: 1
	.section	.text._ZL19rocblas_axpy_kernelIiLi256EfPKDF16_PKS1_PKPDF16_EviT2_lT3_lT_lT4_lS9_li,"axG",@progbits,_ZL19rocblas_axpy_kernelIiLi256EfPKDF16_PKS1_PKPDF16_EviT2_lT3_lT_lT4_lS9_li,comdat
	.globl	_ZL19rocblas_axpy_kernelIiLi256EfPKDF16_PKS1_PKPDF16_EviT2_lT3_lT_lT4_lS9_li ; -- Begin function _ZL19rocblas_axpy_kernelIiLi256EfPKDF16_PKS1_PKPDF16_EviT2_lT3_lT_lT4_lS9_li
	.p2align	8
	.type	_ZL19rocblas_axpy_kernelIiLi256EfPKDF16_PKS1_PKPDF16_EviT2_lT3_lT_lT4_lS9_li,@function
_ZL19rocblas_axpy_kernelIiLi256EfPKDF16_PKS1_PKPDF16_EviT2_lT3_lT_lT4_lS9_li: ; @_ZL19rocblas_axpy_kernelIiLi256EfPKDF16_PKS1_PKPDF16_EviT2_lT3_lT_lT4_lS9_li
; %bb.0:
	s_load_dword s0, s[4:5], 0x0
	s_load_dwordx4 s[8:11], s[4:5], 0x8
	s_mov_b32 s2, s7
	v_mov_b32_e32 v1, 0
	v_lshl_or_b32 v0, s6, 8, v0
	s_waitcnt lgkmcnt(0)
	s_ashr_i32 s1, s0, 31
	s_mul_i32 s3, s11, s7
	s_mul_hi_u32 s7, s10, s7
	s_add_i32 s11, s7, s3
	s_mul_i32 s10, s10, s2
	s_lshl_b64 s[10:11], s[10:11], 1
	s_add_u32 s8, s8, s10
	s_addc_u32 s9, s9, s11
	global_load_ushort v2, v1, s[8:9]
	v_cmp_gt_i64_e32 vcc, s[0:1], v[0:1]
	s_mov_b32 s3, 0
	s_waitcnt vmcnt(0)
	v_cmp_neq_f16_e64 s[0:1], 0, v2
	s_and_b64 s[0:1], vcc, s[0:1]
	s_and_saveexec_b64 s[6:7], s[0:1]
	s_cbranch_execz .LBB154_2
; %bb.1:
	s_load_dword s12, s[4:5], 0x28
	s_load_dwordx4 s[8:11], s[4:5], 0x18
	s_load_dword s14, s[4:5], 0x48
	s_lshl_b64 s[6:7], s[2:3], 3
	s_waitcnt lgkmcnt(0)
	v_mad_u64_u32 v[3:4], s[0:1], s12, v0, 0
	s_ashr_i32 s0, s12, 31
	s_ashr_i32 s15, s14, 31
	v_mov_b32_e32 v1, v4
	s_add_u32 s8, s8, s6
	v_mad_u64_u32 v[4:5], s[0:1], s0, v0, v[1:2]
	s_addc_u32 s9, s9, s7
	s_load_dwordx2 s[12:13], s[8:9], 0x0
	s_load_dwordx4 s[0:3], s[4:5], 0x38
	s_lshl_b64 s[4:5], s[10:11], 1
	v_mad_u64_u32 v[5:6], s[8:9], s14, v0, 0
	s_waitcnt lgkmcnt(0)
	s_add_u32 s10, s12, s4
	s_addc_u32 s4, s13, s5
	s_add_u32 s0, s0, s6
	v_mov_b32_e32 v1, v6
	s_addc_u32 s1, s1, s7
	v_mov_b32_e32 v7, s4
	v_mad_u64_u32 v[0:1], s[4:5], s15, v0, v[1:2]
	s_load_dwordx2 s[0:1], s[0:1], 0x0
	v_lshlrev_b64 v[3:4], 1, v[3:4]
	v_mov_b32_e32 v6, v0
	s_lshl_b64 s[2:3], s[2:3], 1
	v_add_co_u32_e32 v3, vcc, s10, v3
	s_waitcnt lgkmcnt(0)
	s_add_u32 s0, s0, s2
	v_lshlrev_b64 v[0:1], 1, v[5:6]
	v_addc_co_u32_e32 v4, vcc, v7, v4, vcc
	s_addc_u32 s1, s1, s3
	v_mov_b32_e32 v5, s1
	v_add_co_u32_e32 v0, vcc, s0, v0
	v_addc_co_u32_e32 v1, vcc, v5, v1, vcc
	flat_load_ushort v5, v[0:1]
	flat_load_ushort v6, v[3:4]
	s_waitcnt vmcnt(0) lgkmcnt(0)
	v_fma_mixlo_f16 v2, v2, v6, v5 op_sel_hi:[1,1,1]
	flat_store_short v[0:1], v2
.LBB154_2:
	s_endpgm
	.section	.rodata,"a",@progbits
	.p2align	6, 0x0
	.amdhsa_kernel _ZL19rocblas_axpy_kernelIiLi256EfPKDF16_PKS1_PKPDF16_EviT2_lT3_lT_lT4_lS9_li
		.amdhsa_group_segment_fixed_size 0
		.amdhsa_private_segment_fixed_size 0
		.amdhsa_kernarg_size 92
		.amdhsa_user_sgpr_count 6
		.amdhsa_user_sgpr_private_segment_buffer 1
		.amdhsa_user_sgpr_dispatch_ptr 0
		.amdhsa_user_sgpr_queue_ptr 0
		.amdhsa_user_sgpr_kernarg_segment_ptr 1
		.amdhsa_user_sgpr_dispatch_id 0
		.amdhsa_user_sgpr_flat_scratch_init 0
		.amdhsa_user_sgpr_private_segment_size 0
		.amdhsa_uses_dynamic_stack 0
		.amdhsa_system_sgpr_private_segment_wavefront_offset 0
		.amdhsa_system_sgpr_workgroup_id_x 1
		.amdhsa_system_sgpr_workgroup_id_y 0
		.amdhsa_system_sgpr_workgroup_id_z 1
		.amdhsa_system_sgpr_workgroup_info 0
		.amdhsa_system_vgpr_workitem_id 0
		.amdhsa_next_free_vgpr 8
		.amdhsa_next_free_sgpr 16
		.amdhsa_reserve_vcc 1
		.amdhsa_reserve_flat_scratch 0
		.amdhsa_float_round_mode_32 0
		.amdhsa_float_round_mode_16_64 0
		.amdhsa_float_denorm_mode_32 3
		.amdhsa_float_denorm_mode_16_64 3
		.amdhsa_dx10_clamp 1
		.amdhsa_ieee_mode 1
		.amdhsa_fp16_overflow 0
		.amdhsa_exception_fp_ieee_invalid_op 0
		.amdhsa_exception_fp_denorm_src 0
		.amdhsa_exception_fp_ieee_div_zero 0
		.amdhsa_exception_fp_ieee_overflow 0
		.amdhsa_exception_fp_ieee_underflow 0
		.amdhsa_exception_fp_ieee_inexact 0
		.amdhsa_exception_int_div_zero 0
	.end_amdhsa_kernel
	.section	.text._ZL19rocblas_axpy_kernelIiLi256EfPKDF16_PKS1_PKPDF16_EviT2_lT3_lT_lT4_lS9_li,"axG",@progbits,_ZL19rocblas_axpy_kernelIiLi256EfPKDF16_PKS1_PKPDF16_EviT2_lT3_lT_lT4_lS9_li,comdat
.Lfunc_end154:
	.size	_ZL19rocblas_axpy_kernelIiLi256EfPKDF16_PKS1_PKPDF16_EviT2_lT3_lT_lT4_lS9_li, .Lfunc_end154-_ZL19rocblas_axpy_kernelIiLi256EfPKDF16_PKS1_PKPDF16_EviT2_lT3_lT_lT4_lS9_li
                                        ; -- End function
	.set _ZL19rocblas_axpy_kernelIiLi256EfPKDF16_PKS1_PKPDF16_EviT2_lT3_lT_lT4_lS9_li.num_vgpr, 8
	.set _ZL19rocblas_axpy_kernelIiLi256EfPKDF16_PKS1_PKPDF16_EviT2_lT3_lT_lT4_lS9_li.num_agpr, 0
	.set _ZL19rocblas_axpy_kernelIiLi256EfPKDF16_PKS1_PKPDF16_EviT2_lT3_lT_lT4_lS9_li.numbered_sgpr, 16
	.set _ZL19rocblas_axpy_kernelIiLi256EfPKDF16_PKS1_PKPDF16_EviT2_lT3_lT_lT4_lS9_li.num_named_barrier, 0
	.set _ZL19rocblas_axpy_kernelIiLi256EfPKDF16_PKS1_PKPDF16_EviT2_lT3_lT_lT4_lS9_li.private_seg_size, 0
	.set _ZL19rocblas_axpy_kernelIiLi256EfPKDF16_PKS1_PKPDF16_EviT2_lT3_lT_lT4_lS9_li.uses_vcc, 1
	.set _ZL19rocblas_axpy_kernelIiLi256EfPKDF16_PKS1_PKPDF16_EviT2_lT3_lT_lT4_lS9_li.uses_flat_scratch, 0
	.set _ZL19rocblas_axpy_kernelIiLi256EfPKDF16_PKS1_PKPDF16_EviT2_lT3_lT_lT4_lS9_li.has_dyn_sized_stack, 0
	.set _ZL19rocblas_axpy_kernelIiLi256EfPKDF16_PKS1_PKPDF16_EviT2_lT3_lT_lT4_lS9_li.has_recursion, 0
	.set _ZL19rocblas_axpy_kernelIiLi256EfPKDF16_PKS1_PKPDF16_EviT2_lT3_lT_lT4_lS9_li.has_indirect_call, 0
	.section	.AMDGPU.csdata,"",@progbits
; Kernel info:
; codeLenInByte = 344
; TotalNumSgprs: 20
; NumVgprs: 8
; ScratchSize: 0
; MemoryBound: 0
; FloatMode: 240
; IeeeMode: 1
; LDSByteSize: 0 bytes/workgroup (compile time only)
; SGPRBlocks: 2
; VGPRBlocks: 1
; NumSGPRsForWavesPerEU: 20
; NumVGPRsForWavesPerEU: 8
; Occupancy: 10
; WaveLimiterHint : 1
; COMPUTE_PGM_RSRC2:SCRATCH_EN: 0
; COMPUTE_PGM_RSRC2:USER_SGPR: 6
; COMPUTE_PGM_RSRC2:TRAP_HANDLER: 0
; COMPUTE_PGM_RSRC2:TGID_X_EN: 1
; COMPUTE_PGM_RSRC2:TGID_Y_EN: 0
; COMPUTE_PGM_RSRC2:TGID_Z_EN: 1
; COMPUTE_PGM_RSRC2:TIDIG_COMP_CNT: 0
	.section	.text._ZL19rocblas_axpy_kernelIiLi256EfDF16_PKPKDF16_PKPDF16_EviT2_lT3_lT_lT4_lS9_li,"axG",@progbits,_ZL19rocblas_axpy_kernelIiLi256EfDF16_PKPKDF16_PKPDF16_EviT2_lT3_lT_lT4_lS9_li,comdat
	.globl	_ZL19rocblas_axpy_kernelIiLi256EfDF16_PKPKDF16_PKPDF16_EviT2_lT3_lT_lT4_lS9_li ; -- Begin function _ZL19rocblas_axpy_kernelIiLi256EfDF16_PKPKDF16_PKPDF16_EviT2_lT3_lT_lT4_lS9_li
	.p2align	8
	.type	_ZL19rocblas_axpy_kernelIiLi256EfDF16_PKPKDF16_PKPDF16_EviT2_lT3_lT_lT4_lS9_li,@function
_ZL19rocblas_axpy_kernelIiLi256EfDF16_PKPKDF16_PKPDF16_EviT2_lT3_lT_lT4_lS9_li: ; @_ZL19rocblas_axpy_kernelIiLi256EfDF16_PKPKDF16_PKPDF16_EviT2_lT3_lT_lT4_lS9_li
; %bb.0:
	s_load_dwordx2 s[0:1], s[4:5], 0x0
	s_mov_b32 s2, s7
	v_lshl_or_b32 v0, s6, 8, v0
	v_mov_b32_e32 v1, 0
	s_mov_b32 s3, 0
	s_waitcnt lgkmcnt(0)
	s_ashr_i32 s7, s0, 31
	s_mov_b32 s6, s0
	v_cmp_gt_i64_e32 vcc, s[6:7], v[0:1]
	v_cmp_neq_f16_e64 s[6:7], s1, 0
	s_and_b64 s[6:7], s[6:7], vcc
	s_and_saveexec_b64 s[8:9], s[6:7]
	s_cbranch_execz .LBB155_2
; %bb.1:
	s_load_dword s0, s[4:5], 0x20
	s_load_dwordx4 s[8:11], s[4:5], 0x10
	s_load_dword s16, s[4:5], 0x40
	s_lshl_b64 s[2:3], s[2:3], 3
	s_waitcnt lgkmcnt(0)
	v_mad_u64_u32 v[1:2], s[6:7], s0, v0, 0
	s_ashr_i32 s0, s0, 31
	s_ashr_i32 s17, s16, 31
	v_mad_u64_u32 v[2:3], s[6:7], s0, v0, v[2:3]
	s_add_u32 s6, s8, s2
	s_addc_u32 s7, s9, s3
	s_load_dwordx2 s[8:9], s[6:7], 0x0
	s_load_dwordx4 s[12:15], s[4:5], 0x30
	s_lshl_b64 s[4:5], s[10:11], 1
	v_mad_u64_u32 v[3:4], s[6:7], s16, v0, 0
	s_waitcnt lgkmcnt(0)
	s_add_u32 s0, s8, s4
	s_addc_u32 s4, s9, s5
	s_add_u32 s2, s12, s2
	s_addc_u32 s3, s13, s3
	s_load_dwordx2 s[2:3], s[2:3], 0x0
	v_mov_b32_e32 v6, s4
	v_mad_u64_u32 v[4:5], s[4:5], s17, v0, v[4:5]
	v_lshlrev_b64 v[1:2], 1, v[1:2]
	s_lshl_b64 s[4:5], s[14:15], 1
	v_add_co_u32_e32 v0, vcc, s0, v1
	v_addc_co_u32_e32 v1, vcc, v6, v2, vcc
	s_waitcnt lgkmcnt(0)
	s_add_u32 s0, s2, s4
	v_lshlrev_b64 v[2:3], 1, v[3:4]
	s_addc_u32 s2, s3, s5
	v_mov_b32_e32 v4, s2
	v_add_co_u32_e32 v2, vcc, s0, v2
	v_addc_co_u32_e32 v3, vcc, v4, v3, vcc
	flat_load_ushort v4, v[2:3]
	flat_load_ushort v5, v[0:1]
	s_waitcnt vmcnt(0) lgkmcnt(0)
	v_fma_mixlo_f16 v0, s1, v5, v4 op_sel_hi:[1,1,1]
	flat_store_short v[2:3], v0
.LBB155_2:
	s_endpgm
	.section	.rodata,"a",@progbits
	.p2align	6, 0x0
	.amdhsa_kernel _ZL19rocblas_axpy_kernelIiLi256EfDF16_PKPKDF16_PKPDF16_EviT2_lT3_lT_lT4_lS9_li
		.amdhsa_group_segment_fixed_size 0
		.amdhsa_private_segment_fixed_size 0
		.amdhsa_kernarg_size 84
		.amdhsa_user_sgpr_count 6
		.amdhsa_user_sgpr_private_segment_buffer 1
		.amdhsa_user_sgpr_dispatch_ptr 0
		.amdhsa_user_sgpr_queue_ptr 0
		.amdhsa_user_sgpr_kernarg_segment_ptr 1
		.amdhsa_user_sgpr_dispatch_id 0
		.amdhsa_user_sgpr_flat_scratch_init 0
		.amdhsa_user_sgpr_private_segment_size 0
		.amdhsa_uses_dynamic_stack 0
		.amdhsa_system_sgpr_private_segment_wavefront_offset 0
		.amdhsa_system_sgpr_workgroup_id_x 1
		.amdhsa_system_sgpr_workgroup_id_y 0
		.amdhsa_system_sgpr_workgroup_id_z 1
		.amdhsa_system_sgpr_workgroup_info 0
		.amdhsa_system_vgpr_workitem_id 0
		.amdhsa_next_free_vgpr 7
		.amdhsa_next_free_sgpr 18
		.amdhsa_reserve_vcc 1
		.amdhsa_reserve_flat_scratch 0
		.amdhsa_float_round_mode_32 0
		.amdhsa_float_round_mode_16_64 0
		.amdhsa_float_denorm_mode_32 3
		.amdhsa_float_denorm_mode_16_64 3
		.amdhsa_dx10_clamp 1
		.amdhsa_ieee_mode 1
		.amdhsa_fp16_overflow 0
		.amdhsa_exception_fp_ieee_invalid_op 0
		.amdhsa_exception_fp_denorm_src 0
		.amdhsa_exception_fp_ieee_div_zero 0
		.amdhsa_exception_fp_ieee_overflow 0
		.amdhsa_exception_fp_ieee_underflow 0
		.amdhsa_exception_fp_ieee_inexact 0
		.amdhsa_exception_int_div_zero 0
	.end_amdhsa_kernel
	.section	.text._ZL19rocblas_axpy_kernelIiLi256EfDF16_PKPKDF16_PKPDF16_EviT2_lT3_lT_lT4_lS9_li,"axG",@progbits,_ZL19rocblas_axpy_kernelIiLi256EfDF16_PKPKDF16_PKPDF16_EviT2_lT3_lT_lT4_lS9_li,comdat
.Lfunc_end155:
	.size	_ZL19rocblas_axpy_kernelIiLi256EfDF16_PKPKDF16_PKPDF16_EviT2_lT3_lT_lT4_lS9_li, .Lfunc_end155-_ZL19rocblas_axpy_kernelIiLi256EfDF16_PKPKDF16_PKPDF16_EviT2_lT3_lT_lT4_lS9_li
                                        ; -- End function
	.set _ZL19rocblas_axpy_kernelIiLi256EfDF16_PKPKDF16_PKPDF16_EviT2_lT3_lT_lT4_lS9_li.num_vgpr, 7
	.set _ZL19rocblas_axpy_kernelIiLi256EfDF16_PKPKDF16_PKPDF16_EviT2_lT3_lT_lT4_lS9_li.num_agpr, 0
	.set _ZL19rocblas_axpy_kernelIiLi256EfDF16_PKPKDF16_PKPDF16_EviT2_lT3_lT_lT4_lS9_li.numbered_sgpr, 18
	.set _ZL19rocblas_axpy_kernelIiLi256EfDF16_PKPKDF16_PKPDF16_EviT2_lT3_lT_lT4_lS9_li.num_named_barrier, 0
	.set _ZL19rocblas_axpy_kernelIiLi256EfDF16_PKPKDF16_PKPDF16_EviT2_lT3_lT_lT4_lS9_li.private_seg_size, 0
	.set _ZL19rocblas_axpy_kernelIiLi256EfDF16_PKPKDF16_PKPDF16_EviT2_lT3_lT_lT4_lS9_li.uses_vcc, 1
	.set _ZL19rocblas_axpy_kernelIiLi256EfDF16_PKPKDF16_PKPDF16_EviT2_lT3_lT_lT4_lS9_li.uses_flat_scratch, 0
	.set _ZL19rocblas_axpy_kernelIiLi256EfDF16_PKPKDF16_PKPDF16_EviT2_lT3_lT_lT4_lS9_li.has_dyn_sized_stack, 0
	.set _ZL19rocblas_axpy_kernelIiLi256EfDF16_PKPKDF16_PKPDF16_EviT2_lT3_lT_lT4_lS9_li.has_recursion, 0
	.set _ZL19rocblas_axpy_kernelIiLi256EfDF16_PKPKDF16_PKPDF16_EviT2_lT3_lT_lT4_lS9_li.has_indirect_call, 0
	.section	.AMDGPU.csdata,"",@progbits
; Kernel info:
; codeLenInByte = 288
; TotalNumSgprs: 22
; NumVgprs: 7
; ScratchSize: 0
; MemoryBound: 0
; FloatMode: 240
; IeeeMode: 1
; LDSByteSize: 0 bytes/workgroup (compile time only)
; SGPRBlocks: 2
; VGPRBlocks: 1
; NumSGPRsForWavesPerEU: 22
; NumVGPRsForWavesPerEU: 7
; Occupancy: 10
; WaveLimiterHint : 1
; COMPUTE_PGM_RSRC2:SCRATCH_EN: 0
; COMPUTE_PGM_RSRC2:USER_SGPR: 6
; COMPUTE_PGM_RSRC2:TRAP_HANDLER: 0
; COMPUTE_PGM_RSRC2:TGID_X_EN: 1
; COMPUTE_PGM_RSRC2:TGID_Y_EN: 0
; COMPUTE_PGM_RSRC2:TGID_Z_EN: 1
; COMPUTE_PGM_RSRC2:TIDIG_COMP_CNT: 0
	.section	.text._ZL26rocblas_haxpy_mod_8_kernelILi256EPKfPKPKDF16_PKPDF16_EviT0_lT1_llT2_lli,"axG",@progbits,_ZL26rocblas_haxpy_mod_8_kernelILi256EPKfPKPKDF16_PKPDF16_EviT0_lT1_llT2_lli,comdat
	.globl	_ZL26rocblas_haxpy_mod_8_kernelILi256EPKfPKPKDF16_PKPDF16_EviT0_lT1_llT2_lli ; -- Begin function _ZL26rocblas_haxpy_mod_8_kernelILi256EPKfPKPKDF16_PKPDF16_EviT0_lT1_llT2_lli
	.p2align	8
	.type	_ZL26rocblas_haxpy_mod_8_kernelILi256EPKfPKPKDF16_PKPDF16_EviT0_lT1_llT2_lli,@function
_ZL26rocblas_haxpy_mod_8_kernelILi256EPKfPKPKDF16_PKPDF16_EviT0_lT1_llT2_lli: ; @_ZL26rocblas_haxpy_mod_8_kernelILi256EPKfPKPKDF16_PKPDF16_EviT0_lT1_llT2_lli
; %bb.0:
	s_load_dword s16, s[4:5], 0x0
	s_load_dwordx8 s[8:15], s[4:5], 0x8
	v_lshl_or_b32 v0, s6, 8, v0
	v_mov_b32_e32 v1, 0
	s_mov_b32 s0, s7
	s_waitcnt lgkmcnt(0)
	s_ashr_i32 s17, s16, 31
	s_mul_i32 s1, s11, s7
	s_mul_hi_u32 s2, s10, s7
	s_add_i32 s3, s2, s1
	s_mul_i32 s2, s10, s7
	s_lshl_b64 s[2:3], s[2:3], 2
	s_add_u32 s2, s8, s2
	s_addc_u32 s3, s9, s3
	s_load_dword s2, s[2:3], 0x0
	v_cmp_gt_i64_e32 vcc, s[16:17], v[0:1]
	s_waitcnt lgkmcnt(0)
	v_cmp_neq_f32_e64 s[6:7], s2, 0
	s_and_b64 s[6:7], vcc, s[6:7]
	s_and_saveexec_b64 s[8:9], s[6:7]
	s_cbranch_execz .LBB156_2
; %bb.1:
	s_mov_b32 s1, 0
	s_lshl_b64 s[0:1], s[0:1], 3
	s_add_u32 s6, s12, s0
	s_addc_u32 s7, s13, s1
	s_load_dwordx2 s[12:13], s[6:7], 0x0
	s_load_dwordx4 s[8:11], s[4:5], 0x30
	s_lshl_b64 s[4:5], s[14:15], 1
	v_lshlrev_b64 v[0:1], 1, v[0:1]
	s_waitcnt lgkmcnt(0)
	s_add_u32 s3, s12, s4
	s_addc_u32 s4, s13, s5
	s_add_u32 s0, s8, s0
	s_addc_u32 s1, s9, s1
	s_load_dwordx2 s[0:1], s[0:1], 0x0
	v_mov_b32_e32 v3, s4
	s_lshl_b64 s[4:5], s[10:11], 1
	v_add_co_u32_e32 v2, vcc, s3, v0
	s_waitcnt lgkmcnt(0)
	s_add_u32 s0, s0, s4
	v_addc_co_u32_e32 v3, vcc, v3, v1, vcc
	s_addc_u32 s1, s1, s5
	v_mov_b32_e32 v4, s1
	v_add_co_u32_e32 v0, vcc, s0, v0
	v_addc_co_u32_e32 v1, vcc, v4, v1, vcc
	flat_load_ushort v4, v[2:3]
	flat_load_ushort v5, v[0:1]
	s_waitcnt vmcnt(0) lgkmcnt(0)
	v_fma_mixlo_f16 v2, s2, v4, v5 op_sel_hi:[0,1,1]
	flat_store_short v[0:1], v2
.LBB156_2:
	s_endpgm
	.section	.rodata,"a",@progbits
	.p2align	6, 0x0
	.amdhsa_kernel _ZL26rocblas_haxpy_mod_8_kernelILi256EPKfPKPKDF16_PKPDF16_EviT0_lT1_llT2_lli
		.amdhsa_group_segment_fixed_size 0
		.amdhsa_private_segment_fixed_size 0
		.amdhsa_kernarg_size 76
		.amdhsa_user_sgpr_count 6
		.amdhsa_user_sgpr_private_segment_buffer 1
		.amdhsa_user_sgpr_dispatch_ptr 0
		.amdhsa_user_sgpr_queue_ptr 0
		.amdhsa_user_sgpr_kernarg_segment_ptr 1
		.amdhsa_user_sgpr_dispatch_id 0
		.amdhsa_user_sgpr_flat_scratch_init 0
		.amdhsa_user_sgpr_private_segment_size 0
		.amdhsa_uses_dynamic_stack 0
		.amdhsa_system_sgpr_private_segment_wavefront_offset 0
		.amdhsa_system_sgpr_workgroup_id_x 1
		.amdhsa_system_sgpr_workgroup_id_y 0
		.amdhsa_system_sgpr_workgroup_id_z 1
		.amdhsa_system_sgpr_workgroup_info 0
		.amdhsa_system_vgpr_workitem_id 0
		.amdhsa_next_free_vgpr 6
		.amdhsa_next_free_sgpr 18
		.amdhsa_reserve_vcc 1
		.amdhsa_reserve_flat_scratch 0
		.amdhsa_float_round_mode_32 0
		.amdhsa_float_round_mode_16_64 0
		.amdhsa_float_denorm_mode_32 3
		.amdhsa_float_denorm_mode_16_64 3
		.amdhsa_dx10_clamp 1
		.amdhsa_ieee_mode 1
		.amdhsa_fp16_overflow 0
		.amdhsa_exception_fp_ieee_invalid_op 0
		.amdhsa_exception_fp_denorm_src 0
		.amdhsa_exception_fp_ieee_div_zero 0
		.amdhsa_exception_fp_ieee_overflow 0
		.amdhsa_exception_fp_ieee_underflow 0
		.amdhsa_exception_fp_ieee_inexact 0
		.amdhsa_exception_int_div_zero 0
	.end_amdhsa_kernel
	.section	.text._ZL26rocblas_haxpy_mod_8_kernelILi256EPKfPKPKDF16_PKPDF16_EviT0_lT1_llT2_lli,"axG",@progbits,_ZL26rocblas_haxpy_mod_8_kernelILi256EPKfPKPKDF16_PKPDF16_EviT0_lT1_llT2_lli,comdat
.Lfunc_end156:
	.size	_ZL26rocblas_haxpy_mod_8_kernelILi256EPKfPKPKDF16_PKPDF16_EviT0_lT1_llT2_lli, .Lfunc_end156-_ZL26rocblas_haxpy_mod_8_kernelILi256EPKfPKPKDF16_PKPDF16_EviT0_lT1_llT2_lli
                                        ; -- End function
	.set _ZL26rocblas_haxpy_mod_8_kernelILi256EPKfPKPKDF16_PKPDF16_EviT0_lT1_llT2_lli.num_vgpr, 6
	.set _ZL26rocblas_haxpy_mod_8_kernelILi256EPKfPKPKDF16_PKPDF16_EviT0_lT1_llT2_lli.num_agpr, 0
	.set _ZL26rocblas_haxpy_mod_8_kernelILi256EPKfPKPKDF16_PKPDF16_EviT0_lT1_llT2_lli.numbered_sgpr, 18
	.set _ZL26rocblas_haxpy_mod_8_kernelILi256EPKfPKPKDF16_PKPDF16_EviT0_lT1_llT2_lli.num_named_barrier, 0
	.set _ZL26rocblas_haxpy_mod_8_kernelILi256EPKfPKPKDF16_PKPDF16_EviT0_lT1_llT2_lli.private_seg_size, 0
	.set _ZL26rocblas_haxpy_mod_8_kernelILi256EPKfPKPKDF16_PKPDF16_EviT0_lT1_llT2_lli.uses_vcc, 1
	.set _ZL26rocblas_haxpy_mod_8_kernelILi256EPKfPKPKDF16_PKPDF16_EviT0_lT1_llT2_lli.uses_flat_scratch, 0
	.set _ZL26rocblas_haxpy_mod_8_kernelILi256EPKfPKPKDF16_PKPDF16_EviT0_lT1_llT2_lli.has_dyn_sized_stack, 0
	.set _ZL26rocblas_haxpy_mod_8_kernelILi256EPKfPKPKDF16_PKPDF16_EviT0_lT1_llT2_lli.has_recursion, 0
	.set _ZL26rocblas_haxpy_mod_8_kernelILi256EPKfPKPKDF16_PKPDF16_EviT0_lT1_llT2_lli.has_indirect_call, 0
	.section	.AMDGPU.csdata,"",@progbits
; Kernel info:
; codeLenInByte = 256
; TotalNumSgprs: 22
; NumVgprs: 6
; ScratchSize: 0
; MemoryBound: 0
; FloatMode: 240
; IeeeMode: 1
; LDSByteSize: 0 bytes/workgroup (compile time only)
; SGPRBlocks: 2
; VGPRBlocks: 1
; NumSGPRsForWavesPerEU: 22
; NumVGPRsForWavesPerEU: 6
; Occupancy: 10
; WaveLimiterHint : 1
; COMPUTE_PGM_RSRC2:SCRATCH_EN: 0
; COMPUTE_PGM_RSRC2:USER_SGPR: 6
; COMPUTE_PGM_RSRC2:TRAP_HANDLER: 0
; COMPUTE_PGM_RSRC2:TGID_X_EN: 1
; COMPUTE_PGM_RSRC2:TGID_Y_EN: 0
; COMPUTE_PGM_RSRC2:TGID_Z_EN: 1
; COMPUTE_PGM_RSRC2:TIDIG_COMP_CNT: 0
	.section	.text._ZL26rocblas_haxpy_mod_8_kernelILi256EfPKPKDF16_PKPDF16_EviT0_lT1_llT2_lli,"axG",@progbits,_ZL26rocblas_haxpy_mod_8_kernelILi256EfPKPKDF16_PKPDF16_EviT0_lT1_llT2_lli,comdat
	.globl	_ZL26rocblas_haxpy_mod_8_kernelILi256EfPKPKDF16_PKPDF16_EviT0_lT1_llT2_lli ; -- Begin function _ZL26rocblas_haxpy_mod_8_kernelILi256EfPKPKDF16_PKPDF16_EviT0_lT1_llT2_lli
	.p2align	8
	.type	_ZL26rocblas_haxpy_mod_8_kernelILi256EfPKPKDF16_PKPDF16_EviT0_lT1_llT2_lli,@function
_ZL26rocblas_haxpy_mod_8_kernelILi256EfPKPKDF16_PKPDF16_EviT0_lT1_llT2_lli: ; @_ZL26rocblas_haxpy_mod_8_kernelILi256EfPKPKDF16_PKPDF16_EviT0_lT1_llT2_lli
; %bb.0:
	s_load_dwordx2 s[0:1], s[4:5], 0x0
	s_mov_b32 s2, s7
	v_lshl_or_b32 v0, s6, 8, v0
	v_mov_b32_e32 v1, 0
	s_mov_b32 s3, 0
	s_waitcnt lgkmcnt(0)
	s_ashr_i32 s7, s0, 31
	s_mov_b32 s6, s0
	v_cmp_gt_i64_e32 vcc, s[6:7], v[0:1]
	v_cmp_neq_f32_e64 s[6:7], s1, 0
	s_and_b64 s[6:7], s[6:7], vcc
	s_and_saveexec_b64 s[8:9], s[6:7]
	s_cbranch_execz .LBB157_2
; %bb.1:
	s_load_dwordx4 s[8:11], s[4:5], 0x10
	s_load_dwordx4 s[12:15], s[4:5], 0x28
	s_lshl_b64 s[2:3], s[2:3], 3
	v_lshlrev_b64 v[0:1], 1, v[0:1]
	s_waitcnt lgkmcnt(0)
	s_add_u32 s4, s8, s2
	s_addc_u32 s5, s9, s3
	s_load_dwordx2 s[4:5], s[4:5], 0x0
	s_lshl_b64 s[6:7], s[10:11], 1
	s_waitcnt lgkmcnt(0)
	s_add_u32 s0, s4, s6
	s_addc_u32 s4, s5, s7
	s_add_u32 s2, s12, s2
	s_addc_u32 s3, s13, s3
	s_load_dwordx2 s[2:3], s[2:3], 0x0
	v_mov_b32_e32 v3, s4
	s_lshl_b64 s[4:5], s[14:15], 1
	v_add_co_u32_e32 v2, vcc, s0, v0
	s_waitcnt lgkmcnt(0)
	s_add_u32 s0, s2, s4
	v_addc_co_u32_e32 v3, vcc, v3, v1, vcc
	s_addc_u32 s2, s3, s5
	v_mov_b32_e32 v4, s2
	v_add_co_u32_e32 v0, vcc, s0, v0
	v_addc_co_u32_e32 v1, vcc, v4, v1, vcc
	flat_load_ushort v4, v[2:3]
	flat_load_ushort v5, v[0:1]
	s_waitcnt vmcnt(0) lgkmcnt(0)
	v_fma_mixlo_f16 v2, s1, v4, v5 op_sel_hi:[0,1,1]
	flat_store_short v[0:1], v2
.LBB157_2:
	s_endpgm
	.section	.rodata,"a",@progbits
	.p2align	6, 0x0
	.amdhsa_kernel _ZL26rocblas_haxpy_mod_8_kernelILi256EfPKPKDF16_PKPDF16_EviT0_lT1_llT2_lli
		.amdhsa_group_segment_fixed_size 0
		.amdhsa_private_segment_fixed_size 0
		.amdhsa_kernarg_size 68
		.amdhsa_user_sgpr_count 6
		.amdhsa_user_sgpr_private_segment_buffer 1
		.amdhsa_user_sgpr_dispatch_ptr 0
		.amdhsa_user_sgpr_queue_ptr 0
		.amdhsa_user_sgpr_kernarg_segment_ptr 1
		.amdhsa_user_sgpr_dispatch_id 0
		.amdhsa_user_sgpr_flat_scratch_init 0
		.amdhsa_user_sgpr_private_segment_size 0
		.amdhsa_uses_dynamic_stack 0
		.amdhsa_system_sgpr_private_segment_wavefront_offset 0
		.amdhsa_system_sgpr_workgroup_id_x 1
		.amdhsa_system_sgpr_workgroup_id_y 0
		.amdhsa_system_sgpr_workgroup_id_z 1
		.amdhsa_system_sgpr_workgroup_info 0
		.amdhsa_system_vgpr_workitem_id 0
		.amdhsa_next_free_vgpr 6
		.amdhsa_next_free_sgpr 16
		.amdhsa_reserve_vcc 1
		.amdhsa_reserve_flat_scratch 0
		.amdhsa_float_round_mode_32 0
		.amdhsa_float_round_mode_16_64 0
		.amdhsa_float_denorm_mode_32 3
		.amdhsa_float_denorm_mode_16_64 3
		.amdhsa_dx10_clamp 1
		.amdhsa_ieee_mode 1
		.amdhsa_fp16_overflow 0
		.amdhsa_exception_fp_ieee_invalid_op 0
		.amdhsa_exception_fp_denorm_src 0
		.amdhsa_exception_fp_ieee_div_zero 0
		.amdhsa_exception_fp_ieee_overflow 0
		.amdhsa_exception_fp_ieee_underflow 0
		.amdhsa_exception_fp_ieee_inexact 0
		.amdhsa_exception_int_div_zero 0
	.end_amdhsa_kernel
	.section	.text._ZL26rocblas_haxpy_mod_8_kernelILi256EfPKPKDF16_PKPDF16_EviT0_lT1_llT2_lli,"axG",@progbits,_ZL26rocblas_haxpy_mod_8_kernelILi256EfPKPKDF16_PKPDF16_EviT0_lT1_llT2_lli,comdat
.Lfunc_end157:
	.size	_ZL26rocblas_haxpy_mod_8_kernelILi256EfPKPKDF16_PKPDF16_EviT0_lT1_llT2_lli, .Lfunc_end157-_ZL26rocblas_haxpy_mod_8_kernelILi256EfPKPKDF16_PKPDF16_EviT0_lT1_llT2_lli
                                        ; -- End function
	.set _ZL26rocblas_haxpy_mod_8_kernelILi256EfPKPKDF16_PKPDF16_EviT0_lT1_llT2_lli.num_vgpr, 6
	.set _ZL26rocblas_haxpy_mod_8_kernelILi256EfPKPKDF16_PKPDF16_EviT0_lT1_llT2_lli.num_agpr, 0
	.set _ZL26rocblas_haxpy_mod_8_kernelILi256EfPKPKDF16_PKPDF16_EviT0_lT1_llT2_lli.numbered_sgpr, 16
	.set _ZL26rocblas_haxpy_mod_8_kernelILi256EfPKPKDF16_PKPDF16_EviT0_lT1_llT2_lli.num_named_barrier, 0
	.set _ZL26rocblas_haxpy_mod_8_kernelILi256EfPKPKDF16_PKPDF16_EviT0_lT1_llT2_lli.private_seg_size, 0
	.set _ZL26rocblas_haxpy_mod_8_kernelILi256EfPKPKDF16_PKPDF16_EviT0_lT1_llT2_lli.uses_vcc, 1
	.set _ZL26rocblas_haxpy_mod_8_kernelILi256EfPKPKDF16_PKPDF16_EviT0_lT1_llT2_lli.uses_flat_scratch, 0
	.set _ZL26rocblas_haxpy_mod_8_kernelILi256EfPKPKDF16_PKPDF16_EviT0_lT1_llT2_lli.has_dyn_sized_stack, 0
	.set _ZL26rocblas_haxpy_mod_8_kernelILi256EfPKPKDF16_PKPDF16_EviT0_lT1_llT2_lli.has_recursion, 0
	.set _ZL26rocblas_haxpy_mod_8_kernelILi256EfPKPKDF16_PKPDF16_EviT0_lT1_llT2_lli.has_indirect_call, 0
	.section	.AMDGPU.csdata,"",@progbits
; Kernel info:
; codeLenInByte = 224
; TotalNumSgprs: 20
; NumVgprs: 6
; ScratchSize: 0
; MemoryBound: 0
; FloatMode: 240
; IeeeMode: 1
; LDSByteSize: 0 bytes/workgroup (compile time only)
; SGPRBlocks: 2
; VGPRBlocks: 1
; NumSGPRsForWavesPerEU: 20
; NumVGPRsForWavesPerEU: 6
; Occupancy: 10
; WaveLimiterHint : 1
; COMPUTE_PGM_RSRC2:SCRATCH_EN: 0
; COMPUTE_PGM_RSRC2:USER_SGPR: 6
; COMPUTE_PGM_RSRC2:TRAP_HANDLER: 0
; COMPUTE_PGM_RSRC2:TGID_X_EN: 1
; COMPUTE_PGM_RSRC2:TGID_Y_EN: 0
; COMPUTE_PGM_RSRC2:TGID_Z_EN: 1
; COMPUTE_PGM_RSRC2:TIDIG_COMP_CNT: 0
	.section	.text._ZL22rocblas_saxpy_2_kernelILi256EfPKfPKPKDF16_PKPDF16_EviT1_lT2_llT3_lli,"axG",@progbits,_ZL22rocblas_saxpy_2_kernelILi256EfPKfPKPKDF16_PKPDF16_EviT1_lT2_llT3_lli,comdat
	.globl	_ZL22rocblas_saxpy_2_kernelILi256EfPKfPKPKDF16_PKPDF16_EviT1_lT2_llT3_lli ; -- Begin function _ZL22rocblas_saxpy_2_kernelILi256EfPKfPKPKDF16_PKPDF16_EviT1_lT2_llT3_lli
	.p2align	8
	.type	_ZL22rocblas_saxpy_2_kernelILi256EfPKfPKPKDF16_PKPDF16_EviT1_lT2_llT3_lli,@function
_ZL22rocblas_saxpy_2_kernelILi256EfPKfPKPKDF16_PKPDF16_EviT1_lT2_llT3_lli: ; @_ZL22rocblas_saxpy_2_kernelILi256EfPKfPKPKDF16_PKPDF16_EviT1_lT2_llT3_lli
; %bb.0:
	s_load_dwordx4 s[8:11], s[4:5], 0x8
	s_mov_b32 s0, s7
	s_waitcnt lgkmcnt(0)
	s_mul_i32 s1, s11, s7
	s_mul_hi_u32 s2, s10, s7
	s_add_i32 s3, s2, s1
	s_mul_i32 s2, s10, s7
	s_lshl_b64 s[2:3], s[2:3], 2
	s_add_u32 s2, s8, s2
	s_addc_u32 s3, s9, s3
	s_load_dword s7, s[2:3], 0x0
	s_waitcnt lgkmcnt(0)
	v_cmp_eq_f32_e64 s[2:3], s7, 0
	s_and_b64 vcc, exec, s[2:3]
	s_cbranch_vccnz .LBB158_5
; %bb.1:
	s_load_dwordx4 s[12:15], s[4:5], 0x18
	s_load_dword s8, s[4:5], 0x0
	s_mov_b32 s1, 0
	s_lshl_b64 s[10:11], s[0:1], 3
	v_lshlrev_b32_e32 v0, 1, v0
	s_waitcnt lgkmcnt(0)
	s_add_u32 s12, s12, s10
	s_addc_u32 s13, s13, s11
	s_load_dwordx2 s[16:17], s[12:13], 0x0
	s_load_dwordx4 s[0:3], s[4:5], 0x30
	s_lshl_b64 s[4:5], s[14:15], 1
	v_lshl_or_b32 v2, s6, 9, v0
	v_mov_b32_e32 v3, 0
	s_waitcnt lgkmcnt(0)
	s_add_u32 s4, s16, s4
	s_addc_u32 s5, s17, s5
	s_add_u32 s0, s0, s10
	s_addc_u32 s1, s1, s11
	s_load_dwordx2 s[0:1], s[0:1], 0x0
	s_lshl_b64 s[2:3], s[2:3], 1
	v_lshlrev_b64 v[0:1], 1, v[2:3]
	s_waitcnt lgkmcnt(0)
	s_add_u32 s6, s0, s2
	s_addc_u32 s9, s1, s3
	s_add_i32 s0, s8, -1
	s_ashr_i32 s1, s0, 31
	v_cmp_gt_i64_e32 vcc, s[0:1], v[2:3]
	s_and_saveexec_b64 s[2:3], vcc
	s_cbranch_execz .LBB158_3
; %bb.2:
	v_mov_b32_e32 v5, s9
	v_add_co_u32_e32 v4, vcc, s6, v0
	v_addc_co_u32_e32 v5, vcc, v5, v1, vcc
	v_mov_b32_e32 v7, s5
	v_add_co_u32_e32 v6, vcc, s4, v0
	v_addc_co_u32_e32 v7, vcc, v7, v1, vcc
	flat_load_dword v8, v[4:5]
	flat_load_ushort v9, v[6:7]
	s_waitcnt vmcnt(0) lgkmcnt(0)
	v_fma_mixlo_f16 v9, s7, v9, v8 op_sel_hi:[0,1,1]
	flat_store_short v[4:5], v9
	flat_load_ushort v6, v[6:7] offset:2
	s_waitcnt vmcnt(0) lgkmcnt(0)
	v_fma_mixlo_f16 v6, s7, v6, v8 op_sel:[0,0,1] op_sel_hi:[0,1,1]
	flat_store_short v[4:5], v6 offset:2
.LBB158_3:
	s_or_b64 exec, exec, s[2:3]
	s_bitcmp1_b32 s8, 0
	v_cmp_eq_u64_e32 vcc, s[0:1], v[2:3]
	s_cselect_b64 s[0:1], -1, 0
	s_and_b64 s[0:1], s[0:1], vcc
	s_and_saveexec_b64 s[2:3], s[0:1]
	s_cbranch_execz .LBB158_5
; %bb.4:
	v_mov_b32_e32 v3, s9
	v_add_co_u32_e32 v2, vcc, s6, v0
	v_addc_co_u32_e32 v3, vcc, v3, v1, vcc
	v_mov_b32_e32 v5, s5
	v_add_co_u32_e32 v0, vcc, s4, v0
	v_addc_co_u32_e32 v1, vcc, v5, v1, vcc
	flat_load_ushort v4, v[2:3]
	s_nop 0
	flat_load_ushort v0, v[0:1]
	s_waitcnt vmcnt(0) lgkmcnt(0)
	v_fma_mixlo_f16 v0, s7, v0, v4 op_sel_hi:[0,1,1]
	flat_store_short v[2:3], v0
.LBB158_5:
	s_endpgm
	.section	.rodata,"a",@progbits
	.p2align	6, 0x0
	.amdhsa_kernel _ZL22rocblas_saxpy_2_kernelILi256EfPKfPKPKDF16_PKPDF16_EviT1_lT2_llT3_lli
		.amdhsa_group_segment_fixed_size 0
		.amdhsa_private_segment_fixed_size 0
		.amdhsa_kernarg_size 76
		.amdhsa_user_sgpr_count 6
		.amdhsa_user_sgpr_private_segment_buffer 1
		.amdhsa_user_sgpr_dispatch_ptr 0
		.amdhsa_user_sgpr_queue_ptr 0
		.amdhsa_user_sgpr_kernarg_segment_ptr 1
		.amdhsa_user_sgpr_dispatch_id 0
		.amdhsa_user_sgpr_flat_scratch_init 0
		.amdhsa_user_sgpr_private_segment_size 0
		.amdhsa_uses_dynamic_stack 0
		.amdhsa_system_sgpr_private_segment_wavefront_offset 0
		.amdhsa_system_sgpr_workgroup_id_x 1
		.amdhsa_system_sgpr_workgroup_id_y 0
		.amdhsa_system_sgpr_workgroup_id_z 1
		.amdhsa_system_sgpr_workgroup_info 0
		.amdhsa_system_vgpr_workitem_id 0
		.amdhsa_next_free_vgpr 10
		.amdhsa_next_free_sgpr 18
		.amdhsa_reserve_vcc 1
		.amdhsa_reserve_flat_scratch 0
		.amdhsa_float_round_mode_32 0
		.amdhsa_float_round_mode_16_64 0
		.amdhsa_float_denorm_mode_32 3
		.amdhsa_float_denorm_mode_16_64 3
		.amdhsa_dx10_clamp 1
		.amdhsa_ieee_mode 1
		.amdhsa_fp16_overflow 0
		.amdhsa_exception_fp_ieee_invalid_op 0
		.amdhsa_exception_fp_denorm_src 0
		.amdhsa_exception_fp_ieee_div_zero 0
		.amdhsa_exception_fp_ieee_overflow 0
		.amdhsa_exception_fp_ieee_underflow 0
		.amdhsa_exception_fp_ieee_inexact 0
		.amdhsa_exception_int_div_zero 0
	.end_amdhsa_kernel
	.section	.text._ZL22rocblas_saxpy_2_kernelILi256EfPKfPKPKDF16_PKPDF16_EviT1_lT2_llT3_lli,"axG",@progbits,_ZL22rocblas_saxpy_2_kernelILi256EfPKfPKPKDF16_PKPDF16_EviT1_lT2_llT3_lli,comdat
.Lfunc_end158:
	.size	_ZL22rocblas_saxpy_2_kernelILi256EfPKfPKPKDF16_PKPDF16_EviT1_lT2_llT3_lli, .Lfunc_end158-_ZL22rocblas_saxpy_2_kernelILi256EfPKfPKPKDF16_PKPDF16_EviT1_lT2_llT3_lli
                                        ; -- End function
	.set _ZL22rocblas_saxpy_2_kernelILi256EfPKfPKPKDF16_PKPDF16_EviT1_lT2_llT3_lli.num_vgpr, 10
	.set _ZL22rocblas_saxpy_2_kernelILi256EfPKfPKPKDF16_PKPDF16_EviT1_lT2_llT3_lli.num_agpr, 0
	.set _ZL22rocblas_saxpy_2_kernelILi256EfPKfPKPKDF16_PKPDF16_EviT1_lT2_llT3_lli.numbered_sgpr, 18
	.set _ZL22rocblas_saxpy_2_kernelILi256EfPKfPKPKDF16_PKPDF16_EviT1_lT2_llT3_lli.num_named_barrier, 0
	.set _ZL22rocblas_saxpy_2_kernelILi256EfPKfPKPKDF16_PKPDF16_EviT1_lT2_llT3_lli.private_seg_size, 0
	.set _ZL22rocblas_saxpy_2_kernelILi256EfPKfPKPKDF16_PKPDF16_EviT1_lT2_llT3_lli.uses_vcc, 1
	.set _ZL22rocblas_saxpy_2_kernelILi256EfPKfPKPKDF16_PKPDF16_EviT1_lT2_llT3_lli.uses_flat_scratch, 0
	.set _ZL22rocblas_saxpy_2_kernelILi256EfPKfPKPKDF16_PKPDF16_EviT1_lT2_llT3_lli.has_dyn_sized_stack, 0
	.set _ZL22rocblas_saxpy_2_kernelILi256EfPKfPKPKDF16_PKPDF16_EviT1_lT2_llT3_lli.has_recursion, 0
	.set _ZL22rocblas_saxpy_2_kernelILi256EfPKfPKPKDF16_PKPDF16_EviT1_lT2_llT3_lli.has_indirect_call, 0
	.section	.AMDGPU.csdata,"",@progbits
; Kernel info:
; codeLenInByte = 400
; TotalNumSgprs: 22
; NumVgprs: 10
; ScratchSize: 0
; MemoryBound: 0
; FloatMode: 240
; IeeeMode: 1
; LDSByteSize: 0 bytes/workgroup (compile time only)
; SGPRBlocks: 2
; VGPRBlocks: 2
; NumSGPRsForWavesPerEU: 22
; NumVGPRsForWavesPerEU: 10
; Occupancy: 10
; WaveLimiterHint : 1
; COMPUTE_PGM_RSRC2:SCRATCH_EN: 0
; COMPUTE_PGM_RSRC2:USER_SGPR: 6
; COMPUTE_PGM_RSRC2:TRAP_HANDLER: 0
; COMPUTE_PGM_RSRC2:TGID_X_EN: 1
; COMPUTE_PGM_RSRC2:TGID_Y_EN: 0
; COMPUTE_PGM_RSRC2:TGID_Z_EN: 1
; COMPUTE_PGM_RSRC2:TIDIG_COMP_CNT: 0
	.section	.text._ZL22rocblas_saxpy_2_kernelILi256EffPKPKDF16_PKPDF16_EviT1_lT2_llT3_lli,"axG",@progbits,_ZL22rocblas_saxpy_2_kernelILi256EffPKPKDF16_PKPDF16_EviT1_lT2_llT3_lli,comdat
	.globl	_ZL22rocblas_saxpy_2_kernelILi256EffPKPKDF16_PKPDF16_EviT1_lT2_llT3_lli ; -- Begin function _ZL22rocblas_saxpy_2_kernelILi256EffPKPKDF16_PKPDF16_EviT1_lT2_llT3_lli
	.p2align	8
	.type	_ZL22rocblas_saxpy_2_kernelILi256EffPKPKDF16_PKPDF16_EviT1_lT2_llT3_lli,@function
_ZL22rocblas_saxpy_2_kernelILi256EffPKPKDF16_PKPDF16_EviT1_lT2_llT3_lli: ; @_ZL22rocblas_saxpy_2_kernelILi256EffPKPKDF16_PKPDF16_EviT1_lT2_llT3_lli
; %bb.0:
	s_load_dwordx2 s[0:1], s[4:5], 0x0
	s_mov_b32 s3, 0
	s_waitcnt lgkmcnt(0)
	v_cmp_eq_f32_e64 s[8:9], s1, 0
	s_and_b64 vcc, exec, s[8:9]
	s_cbranch_vccnz .LBB159_5
; %bb.1:
	s_load_dwordx4 s[8:11], s[4:5], 0x10
	s_load_dwordx4 s[12:15], s[4:5], 0x28
	s_mov_b32 s2, s7
	s_lshl_b64 s[2:3], s[2:3], 3
	v_lshlrev_b32_e32 v0, 1, v0
	s_waitcnt lgkmcnt(0)
	s_add_u32 s4, s8, s2
	s_addc_u32 s5, s9, s3
	s_load_dwordx2 s[4:5], s[4:5], 0x0
	s_lshl_b64 s[8:9], s[10:11], 1
	v_lshl_or_b32 v2, s6, 9, v0
	v_mov_b32_e32 v3, 0
	v_lshlrev_b64 v[0:1], 1, v[2:3]
	s_waitcnt lgkmcnt(0)
	s_add_u32 s7, s4, s8
	s_addc_u32 s8, s5, s9
	s_add_u32 s2, s12, s2
	s_addc_u32 s3, s13, s3
	s_load_dwordx2 s[2:3], s[2:3], 0x0
	s_lshl_b64 s[4:5], s[14:15], 1
	s_waitcnt lgkmcnt(0)
	s_add_u32 s6, s2, s4
	s_addc_u32 s9, s3, s5
	s_add_i32 s2, s0, -1
	s_ashr_i32 s3, s2, 31
	v_cmp_gt_i64_e32 vcc, s[2:3], v[2:3]
	s_and_saveexec_b64 s[4:5], vcc
	s_cbranch_execz .LBB159_3
; %bb.2:
	v_mov_b32_e32 v5, s9
	v_add_co_u32_e32 v4, vcc, s6, v0
	v_addc_co_u32_e32 v5, vcc, v5, v1, vcc
	v_mov_b32_e32 v7, s8
	v_add_co_u32_e32 v6, vcc, s7, v0
	v_addc_co_u32_e32 v7, vcc, v7, v1, vcc
	flat_load_dword v8, v[4:5]
	flat_load_ushort v9, v[6:7]
	s_waitcnt vmcnt(0) lgkmcnt(0)
	v_fma_mixlo_f16 v9, s1, v9, v8 op_sel_hi:[0,1,1]
	flat_store_short v[4:5], v9
	flat_load_ushort v6, v[6:7] offset:2
	s_waitcnt vmcnt(0) lgkmcnt(0)
	v_fma_mixlo_f16 v6, s1, v6, v8 op_sel:[0,0,1] op_sel_hi:[0,1,1]
	flat_store_short v[4:5], v6 offset:2
.LBB159_3:
	s_or_b64 exec, exec, s[4:5]
	s_bitcmp1_b32 s0, 0
	v_cmp_eq_u64_e32 vcc, s[2:3], v[2:3]
	s_cselect_b64 s[2:3], -1, 0
	s_and_b64 s[2:3], s[2:3], vcc
	s_and_saveexec_b64 s[4:5], s[2:3]
	s_cbranch_execz .LBB159_5
; %bb.4:
	v_mov_b32_e32 v3, s9
	v_add_co_u32_e32 v2, vcc, s6, v0
	v_addc_co_u32_e32 v3, vcc, v3, v1, vcc
	v_mov_b32_e32 v5, s8
	v_add_co_u32_e32 v0, vcc, s7, v0
	v_addc_co_u32_e32 v1, vcc, v5, v1, vcc
	flat_load_ushort v4, v[2:3]
	s_nop 0
	flat_load_ushort v0, v[0:1]
	s_waitcnt vmcnt(0) lgkmcnt(0)
	v_fma_mixlo_f16 v0, s1, v0, v4 op_sel_hi:[0,1,1]
	flat_store_short v[2:3], v0
.LBB159_5:
	s_endpgm
	.section	.rodata,"a",@progbits
	.p2align	6, 0x0
	.amdhsa_kernel _ZL22rocblas_saxpy_2_kernelILi256EffPKPKDF16_PKPDF16_EviT1_lT2_llT3_lli
		.amdhsa_group_segment_fixed_size 0
		.amdhsa_private_segment_fixed_size 0
		.amdhsa_kernarg_size 68
		.amdhsa_user_sgpr_count 6
		.amdhsa_user_sgpr_private_segment_buffer 1
		.amdhsa_user_sgpr_dispatch_ptr 0
		.amdhsa_user_sgpr_queue_ptr 0
		.amdhsa_user_sgpr_kernarg_segment_ptr 1
		.amdhsa_user_sgpr_dispatch_id 0
		.amdhsa_user_sgpr_flat_scratch_init 0
		.amdhsa_user_sgpr_private_segment_size 0
		.amdhsa_uses_dynamic_stack 0
		.amdhsa_system_sgpr_private_segment_wavefront_offset 0
		.amdhsa_system_sgpr_workgroup_id_x 1
		.amdhsa_system_sgpr_workgroup_id_y 0
		.amdhsa_system_sgpr_workgroup_id_z 1
		.amdhsa_system_sgpr_workgroup_info 0
		.amdhsa_system_vgpr_workitem_id 0
		.amdhsa_next_free_vgpr 10
		.amdhsa_next_free_sgpr 16
		.amdhsa_reserve_vcc 1
		.amdhsa_reserve_flat_scratch 0
		.amdhsa_float_round_mode_32 0
		.amdhsa_float_round_mode_16_64 0
		.amdhsa_float_denorm_mode_32 3
		.amdhsa_float_denorm_mode_16_64 3
		.amdhsa_dx10_clamp 1
		.amdhsa_ieee_mode 1
		.amdhsa_fp16_overflow 0
		.amdhsa_exception_fp_ieee_invalid_op 0
		.amdhsa_exception_fp_denorm_src 0
		.amdhsa_exception_fp_ieee_div_zero 0
		.amdhsa_exception_fp_ieee_overflow 0
		.amdhsa_exception_fp_ieee_underflow 0
		.amdhsa_exception_fp_ieee_inexact 0
		.amdhsa_exception_int_div_zero 0
	.end_amdhsa_kernel
	.section	.text._ZL22rocblas_saxpy_2_kernelILi256EffPKPKDF16_PKPDF16_EviT1_lT2_llT3_lli,"axG",@progbits,_ZL22rocblas_saxpy_2_kernelILi256EffPKPKDF16_PKPDF16_EviT1_lT2_llT3_lli,comdat
.Lfunc_end159:
	.size	_ZL22rocblas_saxpy_2_kernelILi256EffPKPKDF16_PKPDF16_EviT1_lT2_llT3_lli, .Lfunc_end159-_ZL22rocblas_saxpy_2_kernelILi256EffPKPKDF16_PKPDF16_EviT1_lT2_llT3_lli
                                        ; -- End function
	.set _ZL22rocblas_saxpy_2_kernelILi256EffPKPKDF16_PKPDF16_EviT1_lT2_llT3_lli.num_vgpr, 10
	.set _ZL22rocblas_saxpy_2_kernelILi256EffPKPKDF16_PKPDF16_EviT1_lT2_llT3_lli.num_agpr, 0
	.set _ZL22rocblas_saxpy_2_kernelILi256EffPKPKDF16_PKPDF16_EviT1_lT2_llT3_lli.numbered_sgpr, 16
	.set _ZL22rocblas_saxpy_2_kernelILi256EffPKPKDF16_PKPDF16_EviT1_lT2_llT3_lli.num_named_barrier, 0
	.set _ZL22rocblas_saxpy_2_kernelILi256EffPKPKDF16_PKPDF16_EviT1_lT2_llT3_lli.private_seg_size, 0
	.set _ZL22rocblas_saxpy_2_kernelILi256EffPKPKDF16_PKPDF16_EviT1_lT2_llT3_lli.uses_vcc, 1
	.set _ZL22rocblas_saxpy_2_kernelILi256EffPKPKDF16_PKPDF16_EviT1_lT2_llT3_lli.uses_flat_scratch, 0
	.set _ZL22rocblas_saxpy_2_kernelILi256EffPKPKDF16_PKPDF16_EviT1_lT2_llT3_lli.has_dyn_sized_stack, 0
	.set _ZL22rocblas_saxpy_2_kernelILi256EffPKPKDF16_PKPDF16_EviT1_lT2_llT3_lli.has_recursion, 0
	.set _ZL22rocblas_saxpy_2_kernelILi256EffPKPKDF16_PKPDF16_EviT1_lT2_llT3_lli.has_indirect_call, 0
	.section	.AMDGPU.csdata,"",@progbits
; Kernel info:
; codeLenInByte = 352
; TotalNumSgprs: 20
; NumVgprs: 10
; ScratchSize: 0
; MemoryBound: 0
; FloatMode: 240
; IeeeMode: 1
; LDSByteSize: 0 bytes/workgroup (compile time only)
; SGPRBlocks: 2
; VGPRBlocks: 2
; NumSGPRsForWavesPerEU: 20
; NumVGPRsForWavesPerEU: 10
; Occupancy: 10
; WaveLimiterHint : 1
; COMPUTE_PGM_RSRC2:SCRATCH_EN: 0
; COMPUTE_PGM_RSRC2:USER_SGPR: 6
; COMPUTE_PGM_RSRC2:TRAP_HANDLER: 0
; COMPUTE_PGM_RSRC2:TGID_X_EN: 1
; COMPUTE_PGM_RSRC2:TGID_Y_EN: 0
; COMPUTE_PGM_RSRC2:TGID_Z_EN: 1
; COMPUTE_PGM_RSRC2:TIDIG_COMP_CNT: 0
	.section	.text._ZL27rocblas_axpy_kernel_batchedIiLi128ELi8EfPKfPKPKDF16_PKPDF16_EviT3_lT4_lT_lT5_lSB_li,"axG",@progbits,_ZL27rocblas_axpy_kernel_batchedIiLi128ELi8EfPKfPKPKDF16_PKPDF16_EviT3_lT4_lT_lT5_lSB_li,comdat
	.globl	_ZL27rocblas_axpy_kernel_batchedIiLi128ELi8EfPKfPKPKDF16_PKPDF16_EviT3_lT4_lT_lT5_lSB_li ; -- Begin function _ZL27rocblas_axpy_kernel_batchedIiLi128ELi8EfPKfPKPKDF16_PKPDF16_EviT3_lT4_lT_lT5_lSB_li
	.p2align	8
	.type	_ZL27rocblas_axpy_kernel_batchedIiLi128ELi8EfPKfPKPKDF16_PKPDF16_EviT3_lT4_lT_lT5_lSB_li,@function
_ZL27rocblas_axpy_kernel_batchedIiLi128ELi8EfPKfPKPKDF16_PKPDF16_EviT3_lT4_lT_lT5_lSB_li: ; @_ZL27rocblas_axpy_kernel_batchedIiLi128ELi8EfPKfPKPKDF16_PKPDF16_EviT3_lT4_lT_lT5_lSB_li
; %bb.0:
	s_load_dword s0, s[4:5], 0x0
	v_lshl_add_u32 v6, s6, 7, v0
	v_mov_b32_e32 v7, 0
	s_waitcnt lgkmcnt(0)
	s_ashr_i32 s1, s0, 31
	v_cmp_gt_i64_e32 vcc, s[0:1], v[6:7]
	s_and_saveexec_b64 s[0:1], vcc
	s_cbranch_execz .LBB160_13
; %bb.1:
	s_load_dword s16, s[4:5], 0x28
	s_load_dwordx8 s[8:15], s[4:5], 0x8
	s_load_dwordx4 s[0:3], s[4:5], 0x38
	s_load_dword s17, s[4:5], 0x48
	s_load_dword s6, s[4:5], 0x58
	s_waitcnt lgkmcnt(0)
	v_mad_u64_u32 v[2:3], s[4:5], s16, v6, 0
	s_ashr_i32 s18, s16, 31
	v_mad_u64_u32 v[4:5], s[4:5], s17, v6, 0
	v_mov_b32_e32 v0, v3
	s_ashr_i32 s16, s17, 31
	v_mad_u64_u32 v[7:8], s[4:5], s18, v6, v[0:1]
	v_mov_b32_e32 v0, v5
	v_mad_u64_u32 v[5:6], s[4:5], s16, v6, v[0:1]
	v_lshlrev_b32_e32 v0, 2, v1
	v_lshl_add_u32 v0, s7, 5, v0
	v_mov_b32_e32 v3, v7
	v_cmp_gt_u32_e32 vcc, s6, v0
	s_and_saveexec_b64 s[4:5], vcc
	s_cbranch_execz .LBB160_4
; %bb.2:
	v_mad_u64_u32 v[6:7], s[16:17], s10, v0, 0
	v_mov_b32_e32 v1, v7
	v_mad_u64_u32 v[7:8], s[16:17], s11, v0, v[1:2]
	v_mov_b32_e32 v1, s9
	v_lshlrev_b64 v[6:7], 2, v[6:7]
	v_add_co_u32_e32 v6, vcc, s8, v6
	v_addc_co_u32_e32 v7, vcc, v1, v7, vcc
	global_load_dword v6, v[6:7], off
	s_waitcnt vmcnt(0)
	v_cmp_neq_f32_e32 vcc, 0, v6
	s_and_b64 exec, exec, vcc
	s_cbranch_execz .LBB160_4
; %bb.3:
	v_mov_b32_e32 v1, 0
	v_lshlrev_b64 v[7:8], 3, v[0:1]
	v_mov_b32_e32 v1, s13
	v_add_co_u32_e32 v9, vcc, s12, v7
	v_addc_co_u32_e32 v10, vcc, v1, v8, vcc
	global_load_dwordx2 v[9:10], v[9:10], off
	v_mov_b32_e32 v1, s1
	v_add_co_u32_e32 v7, vcc, s0, v7
	v_addc_co_u32_e32 v8, vcc, v1, v8, vcc
	global_load_dwordx2 v[7:8], v[7:8], off
	s_lshl_b64 s[16:17], s[14:15], 1
	v_mov_b32_e32 v1, s17
	s_lshl_b64 s[18:19], s[2:3], 1
	v_lshlrev_b64 v[11:12], 1, v[2:3]
	v_mov_b32_e32 v15, s19
	v_lshlrev_b64 v[13:14], 1, v[4:5]
	s_waitcnt vmcnt(1)
	v_add_co_u32_e32 v9, vcc, s16, v9
	v_addc_co_u32_e32 v1, vcc, v10, v1, vcc
	s_waitcnt vmcnt(0)
	v_add_co_u32_e32 v10, vcc, s18, v7
	v_addc_co_u32_e32 v15, vcc, v8, v15, vcc
	v_add_co_u32_e32 v7, vcc, v9, v11
	v_addc_co_u32_e32 v8, vcc, v1, v12, vcc
	;; [unrolled: 2-line block ×3, first 2 shown]
	flat_load_ushort v1, v[9:10]
	flat_load_ushort v11, v[7:8]
	s_waitcnt vmcnt(0) lgkmcnt(0)
	v_fma_mixlo_f16 v1, v6, v11, v1 op_sel_hi:[0,1,1]
	flat_store_short v[9:10], v1
.LBB160_4:
	s_or_b64 exec, exec, s[4:5]
	v_or_b32_e32 v1, 1, v0
	v_cmp_gt_u32_e32 vcc, s6, v1
	s_and_saveexec_b64 s[4:5], vcc
	s_cbranch_execz .LBB160_7
; %bb.5:
	v_mad_u64_u32 v[6:7], s[16:17], s10, v1, 0
	v_mad_u64_u32 v[7:8], s[16:17], s11, v1, v[7:8]
	v_mov_b32_e32 v1, s9
	v_lshlrev_b64 v[6:7], 2, v[6:7]
	v_add_co_u32_e32 v6, vcc, s8, v6
	v_addc_co_u32_e32 v7, vcc, v1, v7, vcc
	global_load_dword v6, v[6:7], off
	s_waitcnt vmcnt(0)
	v_cmp_neq_f32_e32 vcc, 0, v6
	s_and_b64 exec, exec, vcc
	s_cbranch_execz .LBB160_7
; %bb.6:
	v_mov_b32_e32 v1, 0
	v_lshlrev_b64 v[7:8], 3, v[0:1]
	v_mov_b32_e32 v1, s13
	v_add_co_u32_e32 v9, vcc, s12, v7
	v_addc_co_u32_e32 v10, vcc, v1, v8, vcc
	global_load_dwordx2 v[9:10], v[9:10], off offset:8
	v_mov_b32_e32 v1, s1
	v_add_co_u32_e32 v7, vcc, s0, v7
	v_addc_co_u32_e32 v8, vcc, v1, v8, vcc
	global_load_dwordx2 v[7:8], v[7:8], off offset:8
	s_lshl_b64 s[16:17], s[14:15], 1
	v_mov_b32_e32 v1, s17
	s_lshl_b64 s[18:19], s[2:3], 1
	v_lshlrev_b64 v[11:12], 1, v[2:3]
	v_mov_b32_e32 v15, s19
	v_lshlrev_b64 v[13:14], 1, v[4:5]
	s_waitcnt vmcnt(0)
	v_add_co_u32_e32 v9, vcc, s16, v9
	v_addc_co_u32_e32 v1, vcc, v10, v1, vcc
	v_add_co_u32_e32 v10, vcc, s18, v7
	v_addc_co_u32_e32 v15, vcc, v8, v15, vcc
	;; [unrolled: 2-line block ×4, first 2 shown]
	flat_load_ushort v1, v[9:10]
	flat_load_ushort v11, v[7:8]
	s_waitcnt vmcnt(0) lgkmcnt(0)
	v_fma_mixlo_f16 v1, v6, v11, v1 op_sel_hi:[0,1,1]
	flat_store_short v[9:10], v1
.LBB160_7:
	s_or_b64 exec, exec, s[4:5]
	v_or_b32_e32 v1, 2, v0
	v_cmp_gt_u32_e32 vcc, s6, v1
	s_and_saveexec_b64 s[4:5], vcc
	s_cbranch_execz .LBB160_10
; %bb.8:
	v_mad_u64_u32 v[6:7], s[16:17], s10, v1, 0
	v_mad_u64_u32 v[7:8], s[16:17], s11, v1, v[7:8]
	v_mov_b32_e32 v1, s9
	v_lshlrev_b64 v[6:7], 2, v[6:7]
	v_add_co_u32_e32 v6, vcc, s8, v6
	v_addc_co_u32_e32 v7, vcc, v1, v7, vcc
	global_load_dword v6, v[6:7], off
	s_waitcnt vmcnt(0)
	v_cmp_neq_f32_e32 vcc, 0, v6
	s_and_b64 exec, exec, vcc
	s_cbranch_execz .LBB160_10
; %bb.9:
	v_mov_b32_e32 v1, 0
	v_lshlrev_b64 v[7:8], 3, v[0:1]
	v_mov_b32_e32 v1, s13
	v_add_co_u32_e32 v9, vcc, s12, v7
	v_addc_co_u32_e32 v10, vcc, v1, v8, vcc
	global_load_dwordx2 v[9:10], v[9:10], off offset:16
	v_mov_b32_e32 v1, s1
	v_add_co_u32_e32 v7, vcc, s0, v7
	v_addc_co_u32_e32 v8, vcc, v1, v8, vcc
	global_load_dwordx2 v[7:8], v[7:8], off offset:16
	s_lshl_b64 s[16:17], s[14:15], 1
	v_mov_b32_e32 v1, s17
	s_lshl_b64 s[18:19], s[2:3], 1
	v_lshlrev_b64 v[11:12], 1, v[2:3]
	v_mov_b32_e32 v15, s19
	v_lshlrev_b64 v[13:14], 1, v[4:5]
	s_waitcnt vmcnt(0)
	v_add_co_u32_e32 v9, vcc, s16, v9
	v_addc_co_u32_e32 v1, vcc, v10, v1, vcc
	v_add_co_u32_e32 v10, vcc, s18, v7
	v_addc_co_u32_e32 v15, vcc, v8, v15, vcc
	;; [unrolled: 2-line block ×4, first 2 shown]
	flat_load_ushort v1, v[9:10]
	flat_load_ushort v11, v[7:8]
	s_waitcnt vmcnt(0) lgkmcnt(0)
	v_fma_mixlo_f16 v1, v6, v11, v1 op_sel_hi:[0,1,1]
	flat_store_short v[9:10], v1
.LBB160_10:
	s_or_b64 exec, exec, s[4:5]
	v_or_b32_e32 v1, 3, v0
	v_cmp_gt_u32_e32 vcc, s6, v1
	s_and_b64 exec, exec, vcc
	s_cbranch_execz .LBB160_13
; %bb.11:
	v_mad_u64_u32 v[6:7], s[4:5], s10, v1, 0
	v_mad_u64_u32 v[7:8], s[4:5], s11, v1, v[7:8]
	v_mov_b32_e32 v1, s9
	v_lshlrev_b64 v[6:7], 2, v[6:7]
	v_add_co_u32_e32 v6, vcc, s8, v6
	v_addc_co_u32_e32 v7, vcc, v1, v7, vcc
	global_load_dword v6, v[6:7], off
	s_waitcnt vmcnt(0)
	v_cmp_neq_f32_e32 vcc, 0, v6
	s_and_b64 exec, exec, vcc
	s_cbranch_execz .LBB160_13
; %bb.12:
	v_mov_b32_e32 v1, 0
	v_lshlrev_b64 v[0:1], 3, v[0:1]
	v_mov_b32_e32 v8, s13
	v_add_co_u32_e32 v7, vcc, s12, v0
	v_addc_co_u32_e32 v8, vcc, v8, v1, vcc
	global_load_dwordx2 v[7:8], v[7:8], off offset:24
	v_mov_b32_e32 v9, s1
	v_add_co_u32_e32 v0, vcc, s0, v0
	v_addc_co_u32_e32 v1, vcc, v9, v1, vcc
	global_load_dwordx2 v[0:1], v[0:1], off offset:24
	s_lshl_b64 s[0:1], s[14:15], 1
	v_mov_b32_e32 v9, s1
	s_lshl_b64 s[2:3], s[2:3], 1
	v_lshlrev_b64 v[2:3], 1, v[2:3]
	v_mov_b32_e32 v10, s3
	v_lshlrev_b64 v[4:5], 1, v[4:5]
	s_waitcnt vmcnt(0)
	v_add_co_u32_e32 v7, vcc, s0, v7
	v_addc_co_u32_e32 v8, vcc, v8, v9, vcc
	v_add_co_u32_e32 v9, vcc, s2, v0
	v_addc_co_u32_e32 v10, vcc, v1, v10, vcc
	v_add_co_u32_e32 v0, vcc, v7, v2
	v_addc_co_u32_e32 v1, vcc, v8, v3, vcc
	v_add_co_u32_e32 v2, vcc, v9, v4
	v_addc_co_u32_e32 v3, vcc, v10, v5, vcc
	flat_load_ushort v4, v[2:3]
	flat_load_ushort v5, v[0:1]
	s_waitcnt vmcnt(0) lgkmcnt(0)
	v_fma_mixlo_f16 v0, v6, v5, v4 op_sel_hi:[0,1,1]
	flat_store_short v[2:3], v0
.LBB160_13:
	s_endpgm
	.section	.rodata,"a",@progbits
	.p2align	6, 0x0
	.amdhsa_kernel _ZL27rocblas_axpy_kernel_batchedIiLi128ELi8EfPKfPKPKDF16_PKPDF16_EviT3_lT4_lT_lT5_lSB_li
		.amdhsa_group_segment_fixed_size 0
		.amdhsa_private_segment_fixed_size 0
		.amdhsa_kernarg_size 92
		.amdhsa_user_sgpr_count 6
		.amdhsa_user_sgpr_private_segment_buffer 1
		.amdhsa_user_sgpr_dispatch_ptr 0
		.amdhsa_user_sgpr_queue_ptr 0
		.amdhsa_user_sgpr_kernarg_segment_ptr 1
		.amdhsa_user_sgpr_dispatch_id 0
		.amdhsa_user_sgpr_flat_scratch_init 0
		.amdhsa_user_sgpr_private_segment_size 0
		.amdhsa_uses_dynamic_stack 0
		.amdhsa_system_sgpr_private_segment_wavefront_offset 0
		.amdhsa_system_sgpr_workgroup_id_x 1
		.amdhsa_system_sgpr_workgroup_id_y 0
		.amdhsa_system_sgpr_workgroup_id_z 1
		.amdhsa_system_sgpr_workgroup_info 0
		.amdhsa_system_vgpr_workitem_id 1
		.amdhsa_next_free_vgpr 16
		.amdhsa_next_free_sgpr 20
		.amdhsa_reserve_vcc 1
		.amdhsa_reserve_flat_scratch 0
		.amdhsa_float_round_mode_32 0
		.amdhsa_float_round_mode_16_64 0
		.amdhsa_float_denorm_mode_32 3
		.amdhsa_float_denorm_mode_16_64 3
		.amdhsa_dx10_clamp 1
		.amdhsa_ieee_mode 1
		.amdhsa_fp16_overflow 0
		.amdhsa_exception_fp_ieee_invalid_op 0
		.amdhsa_exception_fp_denorm_src 0
		.amdhsa_exception_fp_ieee_div_zero 0
		.amdhsa_exception_fp_ieee_overflow 0
		.amdhsa_exception_fp_ieee_underflow 0
		.amdhsa_exception_fp_ieee_inexact 0
		.amdhsa_exception_int_div_zero 0
	.end_amdhsa_kernel
	.section	.text._ZL27rocblas_axpy_kernel_batchedIiLi128ELi8EfPKfPKPKDF16_PKPDF16_EviT3_lT4_lT_lT5_lSB_li,"axG",@progbits,_ZL27rocblas_axpy_kernel_batchedIiLi128ELi8EfPKfPKPKDF16_PKPDF16_EviT3_lT4_lT_lT5_lSB_li,comdat
.Lfunc_end160:
	.size	_ZL27rocblas_axpy_kernel_batchedIiLi128ELi8EfPKfPKPKDF16_PKPDF16_EviT3_lT4_lT_lT5_lSB_li, .Lfunc_end160-_ZL27rocblas_axpy_kernel_batchedIiLi128ELi8EfPKfPKPKDF16_PKPDF16_EviT3_lT4_lT_lT5_lSB_li
                                        ; -- End function
	.set _ZL27rocblas_axpy_kernel_batchedIiLi128ELi8EfPKfPKPKDF16_PKPDF16_EviT3_lT4_lT_lT5_lSB_li.num_vgpr, 16
	.set _ZL27rocblas_axpy_kernel_batchedIiLi128ELi8EfPKfPKPKDF16_PKPDF16_EviT3_lT4_lT_lT5_lSB_li.num_agpr, 0
	.set _ZL27rocblas_axpy_kernel_batchedIiLi128ELi8EfPKfPKPKDF16_PKPDF16_EviT3_lT4_lT_lT5_lSB_li.numbered_sgpr, 20
	.set _ZL27rocblas_axpy_kernel_batchedIiLi128ELi8EfPKfPKPKDF16_PKPDF16_EviT3_lT4_lT_lT5_lSB_li.num_named_barrier, 0
	.set _ZL27rocblas_axpy_kernel_batchedIiLi128ELi8EfPKfPKPKDF16_PKPDF16_EviT3_lT4_lT_lT5_lSB_li.private_seg_size, 0
	.set _ZL27rocblas_axpy_kernel_batchedIiLi128ELi8EfPKfPKPKDF16_PKPDF16_EviT3_lT4_lT_lT5_lSB_li.uses_vcc, 1
	.set _ZL27rocblas_axpy_kernel_batchedIiLi128ELi8EfPKfPKPKDF16_PKPDF16_EviT3_lT4_lT_lT5_lSB_li.uses_flat_scratch, 0
	.set _ZL27rocblas_axpy_kernel_batchedIiLi128ELi8EfPKfPKPKDF16_PKPDF16_EviT3_lT4_lT_lT5_lSB_li.has_dyn_sized_stack, 0
	.set _ZL27rocblas_axpy_kernel_batchedIiLi128ELi8EfPKfPKPKDF16_PKPDF16_EviT3_lT4_lT_lT5_lSB_li.has_recursion, 0
	.set _ZL27rocblas_axpy_kernel_batchedIiLi128ELi8EfPKfPKPKDF16_PKPDF16_EviT3_lT4_lT_lT5_lSB_li.has_indirect_call, 0
	.section	.AMDGPU.csdata,"",@progbits
; Kernel info:
; codeLenInByte = 1096
; TotalNumSgprs: 24
; NumVgprs: 16
; ScratchSize: 0
; MemoryBound: 0
; FloatMode: 240
; IeeeMode: 1
; LDSByteSize: 0 bytes/workgroup (compile time only)
; SGPRBlocks: 2
; VGPRBlocks: 3
; NumSGPRsForWavesPerEU: 24
; NumVGPRsForWavesPerEU: 16
; Occupancy: 10
; WaveLimiterHint : 1
; COMPUTE_PGM_RSRC2:SCRATCH_EN: 0
; COMPUTE_PGM_RSRC2:USER_SGPR: 6
; COMPUTE_PGM_RSRC2:TRAP_HANDLER: 0
; COMPUTE_PGM_RSRC2:TGID_X_EN: 1
; COMPUTE_PGM_RSRC2:TGID_Y_EN: 0
; COMPUTE_PGM_RSRC2:TGID_Z_EN: 1
; COMPUTE_PGM_RSRC2:TIDIG_COMP_CNT: 1
	.section	.text._ZL27rocblas_axpy_kernel_batchedIiLi128ELi8EffPKPKDF16_PKPDF16_EviT3_lT4_lT_lT5_lS9_li,"axG",@progbits,_ZL27rocblas_axpy_kernel_batchedIiLi128ELi8EffPKPKDF16_PKPDF16_EviT3_lT4_lT_lT5_lS9_li,comdat
	.globl	_ZL27rocblas_axpy_kernel_batchedIiLi128ELi8EffPKPKDF16_PKPDF16_EviT3_lT4_lT_lT5_lS9_li ; -- Begin function _ZL27rocblas_axpy_kernel_batchedIiLi128ELi8EffPKPKDF16_PKPDF16_EviT3_lT4_lT_lT5_lS9_li
	.p2align	8
	.type	_ZL27rocblas_axpy_kernel_batchedIiLi128ELi8EffPKPKDF16_PKPDF16_EviT3_lT4_lT_lT5_lS9_li,@function
_ZL27rocblas_axpy_kernel_batchedIiLi128ELi8EffPKPKDF16_PKPDF16_EviT3_lT4_lT_lT5_lS9_li: ; @_ZL27rocblas_axpy_kernel_batchedIiLi128ELi8EffPKPKDF16_PKPDF16_EviT3_lT4_lT_lT5_lS9_li
; %bb.0:
	s_load_dwordx2 s[12:13], s[4:5], 0x0
	v_lshl_add_u32 v2, s6, 7, v0
	v_mov_b32_e32 v3, 0
	s_waitcnt lgkmcnt(0)
	s_ashr_i32 s1, s12, 31
	s_mov_b32 s0, s12
	v_cmp_gt_i64_e32 vcc, s[0:1], v[2:3]
	s_and_saveexec_b64 s[0:1], vcc
	s_cbranch_execz .LBB161_9
; %bb.1:
	s_load_dword s6, s[4:5], 0x20
	s_load_dwordx4 s[0:3], s[4:5], 0x10
	s_load_dwordx4 s[8:11], s[4:5], 0x30
	s_load_dword s14, s[4:5], 0x40
	s_load_dword s12, s[4:5], 0x50
	s_waitcnt lgkmcnt(0)
	v_mad_u64_u32 v[5:6], s[4:5], s6, v2, 0
	s_ashr_i32 s15, s6, 31
	v_mad_u64_u32 v[7:8], s[4:5], s14, v2, 0
	v_mov_b32_e32 v0, v6
	s_ashr_i32 s6, s14, 31
	v_mad_u64_u32 v[3:4], s[4:5], s15, v2, v[0:1]
	v_mov_b32_e32 v0, v8
	v_mad_u64_u32 v[8:9], s[4:5], s6, v2, v[0:1]
	v_lshlrev_b32_e32 v0, 2, v1
	v_lshl_add_u32 v4, s7, 5, v0
	v_mov_b32_e32 v6, v3
	v_cmp_neq_f32_e64 s[4:5], s13, 0
	v_cmp_gt_u32_e32 vcc, s12, v4
	v_lshlrev_b64 v[2:3], 1, v[5:6]
	v_lshlrev_b64 v[0:1], 1, v[7:8]
	s_and_b64 s[14:15], s[4:5], vcc
	s_and_saveexec_b64 s[6:7], s[14:15]
	s_cbranch_execz .LBB161_3
; %bb.2:
	v_mov_b32_e32 v5, 0
	v_lshlrev_b64 v[5:6], 3, v[4:5]
	v_mov_b32_e32 v8, s1
	v_add_co_u32_e32 v7, vcc, s0, v5
	v_addc_co_u32_e32 v8, vcc, v8, v6, vcc
	global_load_dwordx2 v[7:8], v[7:8], off
	v_mov_b32_e32 v9, s9
	v_add_co_u32_e32 v5, vcc, s8, v5
	v_addc_co_u32_e32 v6, vcc, v9, v6, vcc
	global_load_dwordx2 v[5:6], v[5:6], off
	s_lshl_b64 s[14:15], s[2:3], 1
	v_mov_b32_e32 v9, s15
	s_lshl_b64 s[16:17], s[10:11], 1
	v_mov_b32_e32 v10, s17
	s_waitcnt vmcnt(1)
	v_add_co_u32_e32 v7, vcc, s14, v7
	v_addc_co_u32_e32 v8, vcc, v8, v9, vcc
	s_waitcnt vmcnt(0)
	v_add_co_u32_e32 v9, vcc, s16, v5
	v_addc_co_u32_e32 v10, vcc, v6, v10, vcc
	v_add_co_u32_e32 v5, vcc, v7, v2
	v_addc_co_u32_e32 v6, vcc, v8, v3, vcc
	;; [unrolled: 2-line block ×3, first 2 shown]
	flat_load_ushort v9, v[7:8]
	flat_load_ushort v10, v[5:6]
	s_waitcnt vmcnt(0) lgkmcnt(0)
	v_fma_mixlo_f16 v5, s13, v10, v9 op_sel_hi:[0,1,1]
	flat_store_short v[7:8], v5
.LBB161_3:
	s_or_b64 exec, exec, s[6:7]
	v_or_b32_e32 v5, 1, v4
	v_cmp_gt_u32_e32 vcc, s12, v5
	s_and_b64 s[14:15], s[4:5], vcc
	s_and_saveexec_b64 s[6:7], s[14:15]
	s_cbranch_execz .LBB161_5
; %bb.4:
	v_mov_b32_e32 v5, 0
	v_lshlrev_b64 v[5:6], 3, v[4:5]
	v_mov_b32_e32 v8, s1
	v_add_co_u32_e32 v7, vcc, s0, v5
	v_addc_co_u32_e32 v8, vcc, v8, v6, vcc
	global_load_dwordx2 v[7:8], v[7:8], off offset:8
	v_mov_b32_e32 v9, s9
	v_add_co_u32_e32 v5, vcc, s8, v5
	v_addc_co_u32_e32 v6, vcc, v9, v6, vcc
	global_load_dwordx2 v[5:6], v[5:6], off offset:8
	s_lshl_b64 s[14:15], s[2:3], 1
	v_mov_b32_e32 v9, s15
	s_lshl_b64 s[16:17], s[10:11], 1
	v_mov_b32_e32 v10, s17
	s_waitcnt vmcnt(0)
	v_add_co_u32_e32 v7, vcc, s14, v7
	v_addc_co_u32_e32 v8, vcc, v8, v9, vcc
	v_add_co_u32_e32 v9, vcc, s16, v5
	v_addc_co_u32_e32 v10, vcc, v6, v10, vcc
	v_add_co_u32_e32 v5, vcc, v7, v2
	v_addc_co_u32_e32 v6, vcc, v8, v3, vcc
	v_add_co_u32_e32 v7, vcc, v9, v0
	v_addc_co_u32_e32 v8, vcc, v10, v1, vcc
	flat_load_ushort v9, v[7:8]
	flat_load_ushort v10, v[5:6]
	s_waitcnt vmcnt(0) lgkmcnt(0)
	v_fma_mixlo_f16 v5, s13, v10, v9 op_sel_hi:[0,1,1]
	flat_store_short v[7:8], v5
.LBB161_5:
	s_or_b64 exec, exec, s[6:7]
	v_or_b32_e32 v5, 2, v4
	v_cmp_gt_u32_e32 vcc, s12, v5
	s_and_b64 s[14:15], s[4:5], vcc
	s_and_saveexec_b64 s[6:7], s[14:15]
	s_cbranch_execz .LBB161_7
; %bb.6:
	v_mov_b32_e32 v5, 0
	v_lshlrev_b64 v[5:6], 3, v[4:5]
	v_mov_b32_e32 v8, s1
	v_add_co_u32_e32 v7, vcc, s0, v5
	v_addc_co_u32_e32 v8, vcc, v8, v6, vcc
	global_load_dwordx2 v[7:8], v[7:8], off offset:16
	v_mov_b32_e32 v9, s9
	v_add_co_u32_e32 v5, vcc, s8, v5
	v_addc_co_u32_e32 v6, vcc, v9, v6, vcc
	global_load_dwordx2 v[5:6], v[5:6], off offset:16
	s_lshl_b64 s[14:15], s[2:3], 1
	v_mov_b32_e32 v9, s15
	s_lshl_b64 s[16:17], s[10:11], 1
	v_mov_b32_e32 v10, s17
	s_waitcnt vmcnt(0)
	v_add_co_u32_e32 v7, vcc, s14, v7
	v_addc_co_u32_e32 v8, vcc, v8, v9, vcc
	v_add_co_u32_e32 v9, vcc, s16, v5
	v_addc_co_u32_e32 v10, vcc, v6, v10, vcc
	;; [unrolled: 2-line block ×4, first 2 shown]
	flat_load_ushort v9, v[7:8]
	flat_load_ushort v10, v[5:6]
	s_waitcnt vmcnt(0) lgkmcnt(0)
	v_fma_mixlo_f16 v5, s13, v10, v9 op_sel_hi:[0,1,1]
	flat_store_short v[7:8], v5
.LBB161_7:
	s_or_b64 exec, exec, s[6:7]
	v_or_b32_e32 v5, 3, v4
	v_cmp_gt_u32_e32 vcc, s12, v5
	s_and_b64 s[4:5], s[4:5], vcc
	s_and_b64 exec, exec, s[4:5]
	s_cbranch_execz .LBB161_9
; %bb.8:
	v_mov_b32_e32 v5, 0
	v_lshlrev_b64 v[4:5], 3, v[4:5]
	v_mov_b32_e32 v7, s1
	v_add_co_u32_e32 v6, vcc, s0, v4
	v_addc_co_u32_e32 v7, vcc, v7, v5, vcc
	global_load_dwordx2 v[6:7], v[6:7], off offset:24
	v_mov_b32_e32 v8, s9
	v_add_co_u32_e32 v4, vcc, s8, v4
	v_addc_co_u32_e32 v5, vcc, v8, v5, vcc
	global_load_dwordx2 v[4:5], v[4:5], off offset:24
	s_lshl_b64 s[0:1], s[2:3], 1
	v_mov_b32_e32 v8, s1
	s_lshl_b64 s[2:3], s[10:11], 1
	v_mov_b32_e32 v9, s3
	s_waitcnt vmcnt(0)
	v_add_co_u32_e32 v6, vcc, s0, v6
	v_addc_co_u32_e32 v7, vcc, v7, v8, vcc
	v_add_co_u32_e32 v4, vcc, s2, v4
	v_addc_co_u32_e32 v5, vcc, v5, v9, vcc
	;; [unrolled: 2-line block ×4, first 2 shown]
	flat_load_ushort v4, v[0:1]
	flat_load_ushort v5, v[2:3]
	s_waitcnt vmcnt(0) lgkmcnt(0)
	v_fma_mixlo_f16 v2, s13, v5, v4 op_sel_hi:[0,1,1]
	flat_store_short v[0:1], v2
.LBB161_9:
	s_endpgm
	.section	.rodata,"a",@progbits
	.p2align	6, 0x0
	.amdhsa_kernel _ZL27rocblas_axpy_kernel_batchedIiLi128ELi8EffPKPKDF16_PKPDF16_EviT3_lT4_lT_lT5_lS9_li
		.amdhsa_group_segment_fixed_size 0
		.amdhsa_private_segment_fixed_size 0
		.amdhsa_kernarg_size 84
		.amdhsa_user_sgpr_count 6
		.amdhsa_user_sgpr_private_segment_buffer 1
		.amdhsa_user_sgpr_dispatch_ptr 0
		.amdhsa_user_sgpr_queue_ptr 0
		.amdhsa_user_sgpr_kernarg_segment_ptr 1
		.amdhsa_user_sgpr_dispatch_id 0
		.amdhsa_user_sgpr_flat_scratch_init 0
		.amdhsa_user_sgpr_private_segment_size 0
		.amdhsa_uses_dynamic_stack 0
		.amdhsa_system_sgpr_private_segment_wavefront_offset 0
		.amdhsa_system_sgpr_workgroup_id_x 1
		.amdhsa_system_sgpr_workgroup_id_y 0
		.amdhsa_system_sgpr_workgroup_id_z 1
		.amdhsa_system_sgpr_workgroup_info 0
		.amdhsa_system_vgpr_workitem_id 1
		.amdhsa_next_free_vgpr 11
		.amdhsa_next_free_sgpr 18
		.amdhsa_reserve_vcc 1
		.amdhsa_reserve_flat_scratch 0
		.amdhsa_float_round_mode_32 0
		.amdhsa_float_round_mode_16_64 0
		.amdhsa_float_denorm_mode_32 3
		.amdhsa_float_denorm_mode_16_64 3
		.amdhsa_dx10_clamp 1
		.amdhsa_ieee_mode 1
		.amdhsa_fp16_overflow 0
		.amdhsa_exception_fp_ieee_invalid_op 0
		.amdhsa_exception_fp_denorm_src 0
		.amdhsa_exception_fp_ieee_div_zero 0
		.amdhsa_exception_fp_ieee_overflow 0
		.amdhsa_exception_fp_ieee_underflow 0
		.amdhsa_exception_fp_ieee_inexact 0
		.amdhsa_exception_int_div_zero 0
	.end_amdhsa_kernel
	.section	.text._ZL27rocblas_axpy_kernel_batchedIiLi128ELi8EffPKPKDF16_PKPDF16_EviT3_lT4_lT_lT5_lS9_li,"axG",@progbits,_ZL27rocblas_axpy_kernel_batchedIiLi128ELi8EffPKPKDF16_PKPDF16_EviT3_lT4_lT_lT5_lS9_li,comdat
.Lfunc_end161:
	.size	_ZL27rocblas_axpy_kernel_batchedIiLi128ELi8EffPKPKDF16_PKPDF16_EviT3_lT4_lT_lT5_lS9_li, .Lfunc_end161-_ZL27rocblas_axpy_kernel_batchedIiLi128ELi8EffPKPKDF16_PKPDF16_EviT3_lT4_lT_lT5_lS9_li
                                        ; -- End function
	.set _ZL27rocblas_axpy_kernel_batchedIiLi128ELi8EffPKPKDF16_PKPDF16_EviT3_lT4_lT_lT5_lS9_li.num_vgpr, 11
	.set _ZL27rocblas_axpy_kernel_batchedIiLi128ELi8EffPKPKDF16_PKPDF16_EviT3_lT4_lT_lT5_lS9_li.num_agpr, 0
	.set _ZL27rocblas_axpy_kernel_batchedIiLi128ELi8EffPKPKDF16_PKPDF16_EviT3_lT4_lT_lT5_lS9_li.numbered_sgpr, 18
	.set _ZL27rocblas_axpy_kernel_batchedIiLi128ELi8EffPKPKDF16_PKPDF16_EviT3_lT4_lT_lT5_lS9_li.num_named_barrier, 0
	.set _ZL27rocblas_axpy_kernel_batchedIiLi128ELi8EffPKPKDF16_PKPDF16_EviT3_lT4_lT_lT5_lS9_li.private_seg_size, 0
	.set _ZL27rocblas_axpy_kernel_batchedIiLi128ELi8EffPKPKDF16_PKPDF16_EviT3_lT4_lT_lT5_lS9_li.uses_vcc, 1
	.set _ZL27rocblas_axpy_kernel_batchedIiLi128ELi8EffPKPKDF16_PKPDF16_EviT3_lT4_lT_lT5_lS9_li.uses_flat_scratch, 0
	.set _ZL27rocblas_axpy_kernel_batchedIiLi128ELi8EffPKPKDF16_PKPDF16_EviT3_lT4_lT_lT5_lS9_li.has_dyn_sized_stack, 0
	.set _ZL27rocblas_axpy_kernel_batchedIiLi128ELi8EffPKPKDF16_PKPDF16_EviT3_lT4_lT_lT5_lS9_li.has_recursion, 0
	.set _ZL27rocblas_axpy_kernel_batchedIiLi128ELi8EffPKPKDF16_PKPDF16_EviT3_lT4_lT_lT5_lS9_li.has_indirect_call, 0
	.section	.AMDGPU.csdata,"",@progbits
; Kernel info:
; codeLenInByte = 832
; TotalNumSgprs: 22
; NumVgprs: 11
; ScratchSize: 0
; MemoryBound: 0
; FloatMode: 240
; IeeeMode: 1
; LDSByteSize: 0 bytes/workgroup (compile time only)
; SGPRBlocks: 2
; VGPRBlocks: 2
; NumSGPRsForWavesPerEU: 22
; NumVGPRsForWavesPerEU: 11
; Occupancy: 10
; WaveLimiterHint : 1
; COMPUTE_PGM_RSRC2:SCRATCH_EN: 0
; COMPUTE_PGM_RSRC2:USER_SGPR: 6
; COMPUTE_PGM_RSRC2:TRAP_HANDLER: 0
; COMPUTE_PGM_RSRC2:TGID_X_EN: 1
; COMPUTE_PGM_RSRC2:TGID_Y_EN: 0
; COMPUTE_PGM_RSRC2:TGID_Z_EN: 1
; COMPUTE_PGM_RSRC2:TIDIG_COMP_CNT: 1
	.section	.text._ZL19rocblas_axpy_kernelIiLi256EfPKfPKPKDF16_PKPDF16_EviT2_lT3_lT_lT4_lSB_li,"axG",@progbits,_ZL19rocblas_axpy_kernelIiLi256EfPKfPKPKDF16_PKPDF16_EviT2_lT3_lT_lT4_lSB_li,comdat
	.globl	_ZL19rocblas_axpy_kernelIiLi256EfPKfPKPKDF16_PKPDF16_EviT2_lT3_lT_lT4_lSB_li ; -- Begin function _ZL19rocblas_axpy_kernelIiLi256EfPKfPKPKDF16_PKPDF16_EviT2_lT3_lT_lT4_lSB_li
	.p2align	8
	.type	_ZL19rocblas_axpy_kernelIiLi256EfPKfPKPKDF16_PKPDF16_EviT2_lT3_lT_lT4_lSB_li,@function
_ZL19rocblas_axpy_kernelIiLi256EfPKfPKPKDF16_PKPDF16_EviT2_lT3_lT_lT4_lSB_li: ; @_ZL19rocblas_axpy_kernelIiLi256EfPKfPKPKDF16_PKPDF16_EviT2_lT3_lT_lT4_lSB_li
; %bb.0:
	s_load_dword s12, s[4:5], 0x0
	s_load_dwordx4 s[8:11], s[4:5], 0x8
	v_lshl_or_b32 v0, s6, 8, v0
	v_mov_b32_e32 v1, 0
	s_mov_b32 s0, s7
	s_waitcnt lgkmcnt(0)
	s_ashr_i32 s13, s12, 31
	s_mul_i32 s1, s11, s7
	s_mul_hi_u32 s2, s10, s7
	s_add_i32 s3, s2, s1
	s_mul_i32 s2, s10, s7
	s_lshl_b64 s[2:3], s[2:3], 2
	s_add_u32 s2, s8, s2
	s_addc_u32 s3, s9, s3
	s_load_dword s2, s[2:3], 0x0
	v_cmp_gt_i64_e32 vcc, s[12:13], v[0:1]
	s_waitcnt lgkmcnt(0)
	v_cmp_neq_f32_e64 s[6:7], s2, 0
	s_and_b64 s[6:7], vcc, s[6:7]
	s_and_saveexec_b64 s[8:9], s[6:7]
	s_cbranch_execz .LBB162_2
; %bb.1:
	s_load_dword s3, s[4:5], 0x28
	s_load_dwordx4 s[8:11], s[4:5], 0x18
	s_load_dword s16, s[4:5], 0x48
	s_mov_b32 s1, 0
	s_lshl_b64 s[0:1], s[0:1], 3
	s_waitcnt lgkmcnt(0)
	v_mad_u64_u32 v[1:2], s[6:7], s3, v0, 0
	s_ashr_i32 s3, s3, 31
	s_ashr_i32 s17, s16, 31
	v_mad_u64_u32 v[2:3], s[6:7], s3, v0, v[2:3]
	s_add_u32 s6, s8, s0
	s_addc_u32 s7, s9, s1
	s_load_dwordx2 s[8:9], s[6:7], 0x0
	s_load_dwordx4 s[12:15], s[4:5], 0x38
	s_lshl_b64 s[4:5], s[10:11], 1
	v_mad_u64_u32 v[3:4], s[6:7], s16, v0, 0
	s_waitcnt lgkmcnt(0)
	s_add_u32 s3, s8, s4
	s_addc_u32 s4, s9, s5
	s_add_u32 s0, s12, s0
	s_addc_u32 s1, s13, s1
	s_load_dwordx2 s[0:1], s[0:1], 0x0
	v_mov_b32_e32 v6, s4
	v_mad_u64_u32 v[4:5], s[4:5], s17, v0, v[4:5]
	v_lshlrev_b64 v[1:2], 1, v[1:2]
	s_lshl_b64 s[4:5], s[14:15], 1
	v_add_co_u32_e32 v0, vcc, s3, v1
	v_addc_co_u32_e32 v1, vcc, v6, v2, vcc
	s_waitcnt lgkmcnt(0)
	s_add_u32 s0, s0, s4
	v_lshlrev_b64 v[2:3], 1, v[3:4]
	s_addc_u32 s1, s1, s5
	v_mov_b32_e32 v4, s1
	v_add_co_u32_e32 v2, vcc, s0, v2
	v_addc_co_u32_e32 v3, vcc, v4, v3, vcc
	flat_load_ushort v4, v[2:3]
	flat_load_ushort v5, v[0:1]
	s_waitcnt vmcnt(0) lgkmcnt(0)
	v_fma_mixlo_f16 v0, s2, v5, v4 op_sel_hi:[0,1,1]
	flat_store_short v[2:3], v0
.LBB162_2:
	s_endpgm
	.section	.rodata,"a",@progbits
	.p2align	6, 0x0
	.amdhsa_kernel _ZL19rocblas_axpy_kernelIiLi256EfPKfPKPKDF16_PKPDF16_EviT2_lT3_lT_lT4_lSB_li
		.amdhsa_group_segment_fixed_size 0
		.amdhsa_private_segment_fixed_size 0
		.amdhsa_kernarg_size 92
		.amdhsa_user_sgpr_count 6
		.amdhsa_user_sgpr_private_segment_buffer 1
		.amdhsa_user_sgpr_dispatch_ptr 0
		.amdhsa_user_sgpr_queue_ptr 0
		.amdhsa_user_sgpr_kernarg_segment_ptr 1
		.amdhsa_user_sgpr_dispatch_id 0
		.amdhsa_user_sgpr_flat_scratch_init 0
		.amdhsa_user_sgpr_private_segment_size 0
		.amdhsa_uses_dynamic_stack 0
		.amdhsa_system_sgpr_private_segment_wavefront_offset 0
		.amdhsa_system_sgpr_workgroup_id_x 1
		.amdhsa_system_sgpr_workgroup_id_y 0
		.amdhsa_system_sgpr_workgroup_id_z 1
		.amdhsa_system_sgpr_workgroup_info 0
		.amdhsa_system_vgpr_workitem_id 0
		.amdhsa_next_free_vgpr 7
		.amdhsa_next_free_sgpr 18
		.amdhsa_reserve_vcc 1
		.amdhsa_reserve_flat_scratch 0
		.amdhsa_float_round_mode_32 0
		.amdhsa_float_round_mode_16_64 0
		.amdhsa_float_denorm_mode_32 3
		.amdhsa_float_denorm_mode_16_64 3
		.amdhsa_dx10_clamp 1
		.amdhsa_ieee_mode 1
		.amdhsa_fp16_overflow 0
		.amdhsa_exception_fp_ieee_invalid_op 0
		.amdhsa_exception_fp_denorm_src 0
		.amdhsa_exception_fp_ieee_div_zero 0
		.amdhsa_exception_fp_ieee_overflow 0
		.amdhsa_exception_fp_ieee_underflow 0
		.amdhsa_exception_fp_ieee_inexact 0
		.amdhsa_exception_int_div_zero 0
	.end_amdhsa_kernel
	.section	.text._ZL19rocblas_axpy_kernelIiLi256EfPKfPKPKDF16_PKPDF16_EviT2_lT3_lT_lT4_lSB_li,"axG",@progbits,_ZL19rocblas_axpy_kernelIiLi256EfPKfPKPKDF16_PKPDF16_EviT2_lT3_lT_lT4_lSB_li,comdat
.Lfunc_end162:
	.size	_ZL19rocblas_axpy_kernelIiLi256EfPKfPKPKDF16_PKPDF16_EviT2_lT3_lT_lT4_lSB_li, .Lfunc_end162-_ZL19rocblas_axpy_kernelIiLi256EfPKfPKPKDF16_PKPDF16_EviT2_lT3_lT_lT4_lSB_li
                                        ; -- End function
	.set _ZL19rocblas_axpy_kernelIiLi256EfPKfPKPKDF16_PKPDF16_EviT2_lT3_lT_lT4_lSB_li.num_vgpr, 7
	.set _ZL19rocblas_axpy_kernelIiLi256EfPKfPKPKDF16_PKPDF16_EviT2_lT3_lT_lT4_lSB_li.num_agpr, 0
	.set _ZL19rocblas_axpy_kernelIiLi256EfPKfPKPKDF16_PKPDF16_EviT2_lT3_lT_lT4_lSB_li.numbered_sgpr, 18
	.set _ZL19rocblas_axpy_kernelIiLi256EfPKfPKPKDF16_PKPDF16_EviT2_lT3_lT_lT4_lSB_li.num_named_barrier, 0
	.set _ZL19rocblas_axpy_kernelIiLi256EfPKfPKPKDF16_PKPDF16_EviT2_lT3_lT_lT4_lSB_li.private_seg_size, 0
	.set _ZL19rocblas_axpy_kernelIiLi256EfPKfPKPKDF16_PKPDF16_EviT2_lT3_lT_lT4_lSB_li.uses_vcc, 1
	.set _ZL19rocblas_axpy_kernelIiLi256EfPKfPKPKDF16_PKPDF16_EviT2_lT3_lT_lT4_lSB_li.uses_flat_scratch, 0
	.set _ZL19rocblas_axpy_kernelIiLi256EfPKfPKPKDF16_PKPDF16_EviT2_lT3_lT_lT4_lSB_li.has_dyn_sized_stack, 0
	.set _ZL19rocblas_axpy_kernelIiLi256EfPKfPKPKDF16_PKPDF16_EviT2_lT3_lT_lT4_lSB_li.has_recursion, 0
	.set _ZL19rocblas_axpy_kernelIiLi256EfPKfPKPKDF16_PKPDF16_EviT2_lT3_lT_lT4_lSB_li.has_indirect_call, 0
	.section	.AMDGPU.csdata,"",@progbits
; Kernel info:
; codeLenInByte = 332
; TotalNumSgprs: 22
; NumVgprs: 7
; ScratchSize: 0
; MemoryBound: 0
; FloatMode: 240
; IeeeMode: 1
; LDSByteSize: 0 bytes/workgroup (compile time only)
; SGPRBlocks: 2
; VGPRBlocks: 1
; NumSGPRsForWavesPerEU: 22
; NumVGPRsForWavesPerEU: 7
; Occupancy: 10
; WaveLimiterHint : 1
; COMPUTE_PGM_RSRC2:SCRATCH_EN: 0
; COMPUTE_PGM_RSRC2:USER_SGPR: 6
; COMPUTE_PGM_RSRC2:TRAP_HANDLER: 0
; COMPUTE_PGM_RSRC2:TGID_X_EN: 1
; COMPUTE_PGM_RSRC2:TGID_Y_EN: 0
; COMPUTE_PGM_RSRC2:TGID_Z_EN: 1
; COMPUTE_PGM_RSRC2:TIDIG_COMP_CNT: 0
	.section	.text._ZL19rocblas_axpy_kernelIiLi256EffPKPKDF16_PKPDF16_EviT2_lT3_lT_lT4_lS9_li,"axG",@progbits,_ZL19rocblas_axpy_kernelIiLi256EffPKPKDF16_PKPDF16_EviT2_lT3_lT_lT4_lS9_li,comdat
	.globl	_ZL19rocblas_axpy_kernelIiLi256EffPKPKDF16_PKPDF16_EviT2_lT3_lT_lT4_lS9_li ; -- Begin function _ZL19rocblas_axpy_kernelIiLi256EffPKPKDF16_PKPDF16_EviT2_lT3_lT_lT4_lS9_li
	.p2align	8
	.type	_ZL19rocblas_axpy_kernelIiLi256EffPKPKDF16_PKPDF16_EviT2_lT3_lT_lT4_lS9_li,@function
_ZL19rocblas_axpy_kernelIiLi256EffPKPKDF16_PKPDF16_EviT2_lT3_lT_lT4_lS9_li: ; @_ZL19rocblas_axpy_kernelIiLi256EffPKPKDF16_PKPDF16_EviT2_lT3_lT_lT4_lS9_li
; %bb.0:
	s_load_dwordx2 s[0:1], s[4:5], 0x0
	s_mov_b32 s2, s7
	v_lshl_or_b32 v0, s6, 8, v0
	v_mov_b32_e32 v1, 0
	s_mov_b32 s3, 0
	s_waitcnt lgkmcnt(0)
	s_ashr_i32 s7, s0, 31
	s_mov_b32 s6, s0
	v_cmp_gt_i64_e32 vcc, s[6:7], v[0:1]
	v_cmp_neq_f32_e64 s[6:7], s1, 0
	s_and_b64 s[6:7], s[6:7], vcc
	s_and_saveexec_b64 s[8:9], s[6:7]
	s_cbranch_execz .LBB163_2
; %bb.1:
	s_load_dword s0, s[4:5], 0x20
	s_load_dwordx4 s[8:11], s[4:5], 0x10
	s_load_dword s16, s[4:5], 0x40
	s_lshl_b64 s[2:3], s[2:3], 3
	s_waitcnt lgkmcnt(0)
	v_mad_u64_u32 v[1:2], s[6:7], s0, v0, 0
	s_ashr_i32 s0, s0, 31
	s_ashr_i32 s17, s16, 31
	v_mad_u64_u32 v[2:3], s[6:7], s0, v0, v[2:3]
	s_add_u32 s6, s8, s2
	s_addc_u32 s7, s9, s3
	s_load_dwordx2 s[8:9], s[6:7], 0x0
	s_load_dwordx4 s[12:15], s[4:5], 0x30
	s_lshl_b64 s[4:5], s[10:11], 1
	v_mad_u64_u32 v[3:4], s[6:7], s16, v0, 0
	s_waitcnt lgkmcnt(0)
	s_add_u32 s0, s8, s4
	s_addc_u32 s4, s9, s5
	s_add_u32 s2, s12, s2
	s_addc_u32 s3, s13, s3
	s_load_dwordx2 s[2:3], s[2:3], 0x0
	v_mov_b32_e32 v6, s4
	v_mad_u64_u32 v[4:5], s[4:5], s17, v0, v[4:5]
	v_lshlrev_b64 v[1:2], 1, v[1:2]
	s_lshl_b64 s[4:5], s[14:15], 1
	v_add_co_u32_e32 v0, vcc, s0, v1
	v_addc_co_u32_e32 v1, vcc, v6, v2, vcc
	s_waitcnt lgkmcnt(0)
	s_add_u32 s0, s2, s4
	v_lshlrev_b64 v[2:3], 1, v[3:4]
	s_addc_u32 s2, s3, s5
	v_mov_b32_e32 v4, s2
	v_add_co_u32_e32 v2, vcc, s0, v2
	v_addc_co_u32_e32 v3, vcc, v4, v3, vcc
	flat_load_ushort v4, v[2:3]
	flat_load_ushort v5, v[0:1]
	s_waitcnt vmcnt(0) lgkmcnt(0)
	v_fma_mixlo_f16 v0, s1, v5, v4 op_sel_hi:[0,1,1]
	flat_store_short v[2:3], v0
.LBB163_2:
	s_endpgm
	.section	.rodata,"a",@progbits
	.p2align	6, 0x0
	.amdhsa_kernel _ZL19rocblas_axpy_kernelIiLi256EffPKPKDF16_PKPDF16_EviT2_lT3_lT_lT4_lS9_li
		.amdhsa_group_segment_fixed_size 0
		.amdhsa_private_segment_fixed_size 0
		.amdhsa_kernarg_size 84
		.amdhsa_user_sgpr_count 6
		.amdhsa_user_sgpr_private_segment_buffer 1
		.amdhsa_user_sgpr_dispatch_ptr 0
		.amdhsa_user_sgpr_queue_ptr 0
		.amdhsa_user_sgpr_kernarg_segment_ptr 1
		.amdhsa_user_sgpr_dispatch_id 0
		.amdhsa_user_sgpr_flat_scratch_init 0
		.amdhsa_user_sgpr_private_segment_size 0
		.amdhsa_uses_dynamic_stack 0
		.amdhsa_system_sgpr_private_segment_wavefront_offset 0
		.amdhsa_system_sgpr_workgroup_id_x 1
		.amdhsa_system_sgpr_workgroup_id_y 0
		.amdhsa_system_sgpr_workgroup_id_z 1
		.amdhsa_system_sgpr_workgroup_info 0
		.amdhsa_system_vgpr_workitem_id 0
		.amdhsa_next_free_vgpr 7
		.amdhsa_next_free_sgpr 18
		.amdhsa_reserve_vcc 1
		.amdhsa_reserve_flat_scratch 0
		.amdhsa_float_round_mode_32 0
		.amdhsa_float_round_mode_16_64 0
		.amdhsa_float_denorm_mode_32 3
		.amdhsa_float_denorm_mode_16_64 3
		.amdhsa_dx10_clamp 1
		.amdhsa_ieee_mode 1
		.amdhsa_fp16_overflow 0
		.amdhsa_exception_fp_ieee_invalid_op 0
		.amdhsa_exception_fp_denorm_src 0
		.amdhsa_exception_fp_ieee_div_zero 0
		.amdhsa_exception_fp_ieee_overflow 0
		.amdhsa_exception_fp_ieee_underflow 0
		.amdhsa_exception_fp_ieee_inexact 0
		.amdhsa_exception_int_div_zero 0
	.end_amdhsa_kernel
	.section	.text._ZL19rocblas_axpy_kernelIiLi256EffPKPKDF16_PKPDF16_EviT2_lT3_lT_lT4_lS9_li,"axG",@progbits,_ZL19rocblas_axpy_kernelIiLi256EffPKPKDF16_PKPDF16_EviT2_lT3_lT_lT4_lS9_li,comdat
.Lfunc_end163:
	.size	_ZL19rocblas_axpy_kernelIiLi256EffPKPKDF16_PKPDF16_EviT2_lT3_lT_lT4_lS9_li, .Lfunc_end163-_ZL19rocblas_axpy_kernelIiLi256EffPKPKDF16_PKPDF16_EviT2_lT3_lT_lT4_lS9_li
                                        ; -- End function
	.set _ZL19rocblas_axpy_kernelIiLi256EffPKPKDF16_PKPDF16_EviT2_lT3_lT_lT4_lS9_li.num_vgpr, 7
	.set _ZL19rocblas_axpy_kernelIiLi256EffPKPKDF16_PKPDF16_EviT2_lT3_lT_lT4_lS9_li.num_agpr, 0
	.set _ZL19rocblas_axpy_kernelIiLi256EffPKPKDF16_PKPDF16_EviT2_lT3_lT_lT4_lS9_li.numbered_sgpr, 18
	.set _ZL19rocblas_axpy_kernelIiLi256EffPKPKDF16_PKPDF16_EviT2_lT3_lT_lT4_lS9_li.num_named_barrier, 0
	.set _ZL19rocblas_axpy_kernelIiLi256EffPKPKDF16_PKPDF16_EviT2_lT3_lT_lT4_lS9_li.private_seg_size, 0
	.set _ZL19rocblas_axpy_kernelIiLi256EffPKPKDF16_PKPDF16_EviT2_lT3_lT_lT4_lS9_li.uses_vcc, 1
	.set _ZL19rocblas_axpy_kernelIiLi256EffPKPKDF16_PKPDF16_EviT2_lT3_lT_lT4_lS9_li.uses_flat_scratch, 0
	.set _ZL19rocblas_axpy_kernelIiLi256EffPKPKDF16_PKPDF16_EviT2_lT3_lT_lT4_lS9_li.has_dyn_sized_stack, 0
	.set _ZL19rocblas_axpy_kernelIiLi256EffPKPKDF16_PKPDF16_EviT2_lT3_lT_lT4_lS9_li.has_recursion, 0
	.set _ZL19rocblas_axpy_kernelIiLi256EffPKPKDF16_PKPDF16_EviT2_lT3_lT_lT4_lS9_li.has_indirect_call, 0
	.section	.AMDGPU.csdata,"",@progbits
; Kernel info:
; codeLenInByte = 288
; TotalNumSgprs: 22
; NumVgprs: 7
; ScratchSize: 0
; MemoryBound: 0
; FloatMode: 240
; IeeeMode: 1
; LDSByteSize: 0 bytes/workgroup (compile time only)
; SGPRBlocks: 2
; VGPRBlocks: 1
; NumSGPRsForWavesPerEU: 22
; NumVGPRsForWavesPerEU: 7
; Occupancy: 10
; WaveLimiterHint : 1
; COMPUTE_PGM_RSRC2:SCRATCH_EN: 0
; COMPUTE_PGM_RSRC2:USER_SGPR: 6
; COMPUTE_PGM_RSRC2:TRAP_HANDLER: 0
; COMPUTE_PGM_RSRC2:TGID_X_EN: 1
; COMPUTE_PGM_RSRC2:TGID_Y_EN: 0
; COMPUTE_PGM_RSRC2:TGID_Z_EN: 1
; COMPUTE_PGM_RSRC2:TIDIG_COMP_CNT: 0
	.section	.AMDGPU.gpr_maximums,"",@progbits
	.set amdgpu.max_num_vgpr, 0
	.set amdgpu.max_num_agpr, 0
	.set amdgpu.max_num_sgpr, 0
	.section	.AMDGPU.csdata,"",@progbits
	.type	__hip_cuid_698dd0f68dee5f57,@object ; @__hip_cuid_698dd0f68dee5f57
	.section	.bss,"aw",@nobits
	.globl	__hip_cuid_698dd0f68dee5f57
__hip_cuid_698dd0f68dee5f57:
	.byte	0                               ; 0x0
	.size	__hip_cuid_698dd0f68dee5f57, 1

	.ident	"AMD clang version 22.0.0git (https://github.com/RadeonOpenCompute/llvm-project roc-7.2.4 26084 f58b06dce1f9c15707c5f808fd002e18c2accf7e)"
	.section	".note.GNU-stack","",@progbits
	.addrsig
	.addrsig_sym __hip_cuid_698dd0f68dee5f57
	.amdgpu_metadata
---
amdhsa.kernels:
  - .args:
      - .offset:         0
        .size:           4
        .value_kind:     by_value
      - .address_space:  global
        .offset:         8
        .size:           8
        .value_kind:     global_buffer
      - .offset:         16
        .size:           8
        .value_kind:     by_value
      - .actual_access:  read_only
        .address_space:  global
        .offset:         24
        .size:           8
        .value_kind:     global_buffer
      - .offset:         32
        .size:           8
        .value_kind:     by_value
      - .offset:         40
        .size:           8
        .value_kind:     by_value
      - .address_space:  global
        .offset:         48
        .size:           8
        .value_kind:     global_buffer
      - .offset:         56
        .size:           8
        .value_kind:     by_value
      - .offset:         64
        .size:           8
        .value_kind:     by_value
      - .offset:         72
        .size:           4
        .value_kind:     by_value
    .group_segment_fixed_size: 0
    .kernarg_segment_align: 8
    .kernarg_segment_size: 76
    .language:       OpenCL C
    .language_version:
      - 2
      - 0
    .max_flat_workgroup_size: 256
    .name:           _ZL22rocblas_saxpy_2_kernelILi256EDF16_PKDF16_S1_PDF16_EviT1_lT2_llT3_lli
    .private_segment_fixed_size: 0
    .sgpr_count:     22
    .sgpr_spill_count: 0
    .symbol:         _ZL22rocblas_saxpy_2_kernelILi256EDF16_PKDF16_S1_PDF16_EviT1_lT2_llT3_lli.kd
    .uniform_work_group_size: 1
    .uses_dynamic_stack: false
    .vgpr_count:     11
    .vgpr_spill_count: 0
    .wavefront_size: 64
  - .args:
      - .offset:         0
        .size:           4
        .value_kind:     by_value
      - .offset:         4
        .size:           2
        .value_kind:     by_value
      - .offset:         8
        .size:           8
        .value_kind:     by_value
      - .actual_access:  read_only
        .address_space:  global
        .offset:         16
        .size:           8
        .value_kind:     global_buffer
      - .offset:         24
        .size:           8
        .value_kind:     by_value
      - .offset:         32
        .size:           8
        .value_kind:     by_value
      - .address_space:  global
        .offset:         40
        .size:           8
        .value_kind:     global_buffer
      - .offset:         48
        .size:           8
        .value_kind:     by_value
      - .offset:         56
        .size:           8
        .value_kind:     by_value
      - .offset:         64
        .size:           4
        .value_kind:     by_value
    .group_segment_fixed_size: 0
    .kernarg_segment_align: 8
    .kernarg_segment_size: 68
    .language:       OpenCL C
    .language_version:
      - 2
      - 0
    .max_flat_workgroup_size: 256
    .name:           _ZL22rocblas_saxpy_2_kernelILi256EDF16_DF16_PKDF16_PDF16_EviT1_lT2_llT3_lli
    .private_segment_fixed_size: 0
    .sgpr_count:     22
    .sgpr_spill_count: 0
    .symbol:         _ZL22rocblas_saxpy_2_kernelILi256EDF16_DF16_PKDF16_PDF16_EviT1_lT2_llT3_lli.kd
    .uniform_work_group_size: 1
    .uses_dynamic_stack: false
    .vgpr_count:     10
    .vgpr_spill_count: 0
    .wavefront_size: 64
  - .args:
      - .offset:         0
        .size:           4
        .value_kind:     by_value
      - .address_space:  global
        .offset:         8
        .size:           8
        .value_kind:     global_buffer
      - .offset:         16
        .size:           8
        .value_kind:     by_value
      - .address_space:  global
        .offset:         24
        .size:           8
        .value_kind:     global_buffer
      - .offset:         32
        .size:           8
        .value_kind:     by_value
      - .offset:         40
        .size:           4
        .value_kind:     by_value
      - .offset:         48
        .size:           8
        .value_kind:     by_value
      - .address_space:  global
        .offset:         56
        .size:           8
        .value_kind:     global_buffer
      - .offset:         64
        .size:           8
        .value_kind:     by_value
      - .offset:         72
        .size:           4
        .value_kind:     by_value
      - .offset:         80
        .size:           8
        .value_kind:     by_value
      - .offset:         88
        .size:           4
        .value_kind:     by_value
    .group_segment_fixed_size: 0
    .kernarg_segment_align: 8
    .kernarg_segment_size: 92
    .language:       OpenCL C
    .language_version:
      - 2
      - 0
    .max_flat_workgroup_size: 1024
    .name:           _ZL27rocblas_axpy_kernel_batchedIiLi128ELi8EDF16_PKDF16_S1_PDF16_EviT3_lT4_lT_lT5_lS5_li
    .private_segment_fixed_size: 0
    .sgpr_count:     27
    .sgpr_spill_count: 0
    .symbol:         _ZL27rocblas_axpy_kernel_batchedIiLi128ELi8EDF16_PKDF16_S1_PDF16_EviT3_lT4_lT_lT5_lS5_li.kd
    .uniform_work_group_size: 1
    .uses_dynamic_stack: false
    .vgpr_count:     13
    .vgpr_spill_count: 0
    .wavefront_size: 64
  - .args:
      - .offset:         0
        .size:           4
        .value_kind:     by_value
      - .offset:         4
        .size:           2
        .value_kind:     by_value
      - .offset:         8
        .size:           8
        .value_kind:     by_value
      - .address_space:  global
        .offset:         16
        .size:           8
        .value_kind:     global_buffer
      - .offset:         24
        .size:           8
        .value_kind:     by_value
      - .offset:         32
        .size:           4
        .value_kind:     by_value
      - .offset:         40
        .size:           8
        .value_kind:     by_value
      - .address_space:  global
        .offset:         48
        .size:           8
        .value_kind:     global_buffer
      - .offset:         56
        .size:           8
        .value_kind:     by_value
      - .offset:         64
        .size:           4
        .value_kind:     by_value
      - .offset:         72
        .size:           8
        .value_kind:     by_value
      - .offset:         80
        .size:           4
        .value_kind:     by_value
    .group_segment_fixed_size: 0
    .kernarg_segment_align: 8
    .kernarg_segment_size: 84
    .language:       OpenCL C
    .language_version:
      - 2
      - 0
    .max_flat_workgroup_size: 1024
    .name:           _ZL27rocblas_axpy_kernel_batchedIiLi128ELi8EDF16_DF16_PKDF16_PDF16_EviT3_lT4_lT_lT5_lS5_li
    .private_segment_fixed_size: 0
    .sgpr_count:     24
    .sgpr_spill_count: 0
    .symbol:         _ZL27rocblas_axpy_kernel_batchedIiLi128ELi8EDF16_DF16_PKDF16_PDF16_EviT3_lT4_lT_lT5_lS5_li.kd
    .uniform_work_group_size: 1
    .uses_dynamic_stack: false
    .vgpr_count:     12
    .vgpr_spill_count: 0
    .wavefront_size: 64
  - .args:
      - .offset:         0
        .size:           4
        .value_kind:     by_value
      - .address_space:  global
        .offset:         8
        .size:           8
        .value_kind:     global_buffer
      - .offset:         16
        .size:           8
        .value_kind:     by_value
      - .actual_access:  read_only
        .address_space:  global
        .offset:         24
        .size:           8
        .value_kind:     global_buffer
      - .offset:         32
        .size:           8
        .value_kind:     by_value
      - .offset:         40
        .size:           4
        .value_kind:     by_value
      - .offset:         48
        .size:           8
        .value_kind:     by_value
      - .address_space:  global
        .offset:         56
        .size:           8
        .value_kind:     global_buffer
      - .offset:         64
        .size:           8
        .value_kind:     by_value
      - .offset:         72
        .size:           4
        .value_kind:     by_value
      - .offset:         80
        .size:           8
        .value_kind:     by_value
      - .offset:         88
        .size:           4
        .value_kind:     by_value
    .group_segment_fixed_size: 0
    .kernarg_segment_align: 8
    .kernarg_segment_size: 92
    .language:       OpenCL C
    .language_version:
      - 2
      - 0
    .max_flat_workgroup_size: 256
    .name:           _ZL19rocblas_axpy_kernelIiLi256EDF16_PKDF16_S1_PDF16_EviT2_lT3_lT_lT4_lS5_li
    .private_segment_fixed_size: 0
    .sgpr_count:     21
    .sgpr_spill_count: 0
    .symbol:         _ZL19rocblas_axpy_kernelIiLi256EDF16_PKDF16_S1_PDF16_EviT2_lT3_lT_lT4_lS5_li.kd
    .uniform_work_group_size: 1
    .uses_dynamic_stack: false
    .vgpr_count:     8
    .vgpr_spill_count: 0
    .wavefront_size: 64
  - .args:
      - .offset:         0
        .size:           4
        .value_kind:     by_value
      - .offset:         4
        .size:           2
        .value_kind:     by_value
      - .offset:         8
        .size:           8
        .value_kind:     by_value
      - .actual_access:  read_only
        .address_space:  global
        .offset:         16
        .size:           8
        .value_kind:     global_buffer
      - .offset:         24
        .size:           8
        .value_kind:     by_value
      - .offset:         32
        .size:           4
        .value_kind:     by_value
      - .offset:         40
        .size:           8
        .value_kind:     by_value
      - .address_space:  global
        .offset:         48
        .size:           8
        .value_kind:     global_buffer
      - .offset:         56
        .size:           8
        .value_kind:     by_value
      - .offset:         64
        .size:           4
        .value_kind:     by_value
      - .offset:         72
        .size:           8
        .value_kind:     by_value
      - .offset:         80
        .size:           4
        .value_kind:     by_value
    .group_segment_fixed_size: 0
    .kernarg_segment_align: 8
    .kernarg_segment_size: 84
    .language:       OpenCL C
    .language_version:
      - 2
      - 0
    .max_flat_workgroup_size: 256
    .name:           _ZL19rocblas_axpy_kernelIiLi256EDF16_DF16_PKDF16_PDF16_EviT2_lT3_lT_lT4_lS5_li
    .private_segment_fixed_size: 0
    .sgpr_count:     22
    .sgpr_spill_count: 0
    .symbol:         _ZL19rocblas_axpy_kernelIiLi256EDF16_DF16_PKDF16_PDF16_EviT2_lT3_lT_lT4_lS5_li.kd
    .uniform_work_group_size: 1
    .uses_dynamic_stack: false
    .vgpr_count:     7
    .vgpr_spill_count: 0
    .wavefront_size: 64
  - .args:
      - .offset:         0
        .size:           4
        .value_kind:     by_value
      - .address_space:  global
        .offset:         8
        .size:           8
        .value_kind:     global_buffer
      - .offset:         16
        .size:           8
        .value_kind:     by_value
      - .address_space:  global
        .offset:         24
        .size:           8
        .value_kind:     global_buffer
      - .offset:         32
        .size:           8
        .value_kind:     by_value
      - .offset:         40
        .size:           8
        .value_kind:     by_value
      - .address_space:  global
        .offset:         48
        .size:           8
        .value_kind:     global_buffer
      - .offset:         56
        .size:           8
        .value_kind:     by_value
      - .offset:         64
        .size:           8
        .value_kind:     by_value
      - .offset:         72
        .size:           4
        .value_kind:     by_value
    .group_segment_fixed_size: 0
    .kernarg_segment_align: 8
    .kernarg_segment_size: 76
    .language:       OpenCL C
    .language_version:
      - 2
      - 0
    .max_flat_workgroup_size: 256
    .name:           _ZL26rocblas_haxpy_mlt_8_kernelILi256EPKDF16_PKfPfEviT0_lT1_llT2_lli
    .private_segment_fixed_size: 0
    .sgpr_count:     28
    .sgpr_spill_count: 0
    .symbol:         _ZL26rocblas_haxpy_mlt_8_kernelILi256EPKDF16_PKfPfEviT0_lT1_llT2_lli.kd
    .uniform_work_group_size: 1
    .uses_dynamic_stack: false
    .vgpr_count:     13
    .vgpr_spill_count: 0
    .wavefront_size: 64
  - .args:
      - .offset:         0
        .size:           4
        .value_kind:     by_value
      - .address_space:  global
        .offset:         8
        .size:           8
        .value_kind:     global_buffer
      - .offset:         16
        .size:           8
        .value_kind:     by_value
      - .address_space:  global
        .offset:         24
        .size:           8
        .value_kind:     global_buffer
      - .offset:         32
        .size:           8
        .value_kind:     by_value
      - .offset:         40
        .size:           8
        .value_kind:     by_value
      - .address_space:  global
        .offset:         48
        .size:           8
        .value_kind:     global_buffer
      - .offset:         56
        .size:           8
        .value_kind:     by_value
      - .offset:         64
        .size:           8
        .value_kind:     by_value
      - .offset:         72
        .size:           4
        .value_kind:     by_value
    .group_segment_fixed_size: 0
    .kernarg_segment_align: 8
    .kernarg_segment_size: 76
    .language:       OpenCL C
    .language_version:
      - 2
      - 0
    .max_flat_workgroup_size: 256
    .name:           _ZL26rocblas_haxpy_mod_8_kernelILi256EPKfS1_PfEviT0_lT1_llT2_lli
    .private_segment_fixed_size: 0
    .sgpr_count:     28
    .sgpr_spill_count: 0
    .symbol:         _ZL26rocblas_haxpy_mod_8_kernelILi256EPKfS1_PfEviT0_lT1_llT2_lli.kd
    .uniform_work_group_size: 1
    .uses_dynamic_stack: false
    .vgpr_count:     6
    .vgpr_spill_count: 0
    .wavefront_size: 64
  - .args:
      - .offset:         0
        .size:           4
        .value_kind:     by_value
      - .offset:         4
        .size:           2
        .value_kind:     by_value
      - .offset:         8
        .size:           8
        .value_kind:     by_value
      - .address_space:  global
        .offset:         16
        .size:           8
        .value_kind:     global_buffer
      - .offset:         24
        .size:           8
        .value_kind:     by_value
      - .offset:         32
        .size:           8
        .value_kind:     by_value
      - .address_space:  global
        .offset:         40
        .size:           8
        .value_kind:     global_buffer
      - .offset:         48
        .size:           8
        .value_kind:     by_value
      - .offset:         56
        .size:           8
        .value_kind:     by_value
      - .offset:         64
        .size:           4
        .value_kind:     by_value
    .group_segment_fixed_size: 0
    .kernarg_segment_align: 8
    .kernarg_segment_size: 68
    .language:       OpenCL C
    .language_version:
      - 2
      - 0
    .max_flat_workgroup_size: 256
    .name:           _ZL26rocblas_haxpy_mlt_8_kernelILi256EDF16_PKfPfEviT0_lT1_llT2_lli
    .private_segment_fixed_size: 0
    .sgpr_count:     24
    .sgpr_spill_count: 0
    .symbol:         _ZL26rocblas_haxpy_mlt_8_kernelILi256EDF16_PKfPfEviT0_lT1_llT2_lli.kd
    .uniform_work_group_size: 1
    .uses_dynamic_stack: false
    .vgpr_count:     12
    .vgpr_spill_count: 0
    .wavefront_size: 64
  - .args:
      - .offset:         0
        .size:           4
        .value_kind:     by_value
      - .offset:         4
        .size:           4
        .value_kind:     by_value
      - .offset:         8
        .size:           8
        .value_kind:     by_value
      - .address_space:  global
        .offset:         16
        .size:           8
        .value_kind:     global_buffer
      - .offset:         24
        .size:           8
        .value_kind:     by_value
      - .offset:         32
        .size:           8
        .value_kind:     by_value
      - .address_space:  global
        .offset:         40
        .size:           8
        .value_kind:     global_buffer
      - .offset:         48
        .size:           8
        .value_kind:     by_value
      - .offset:         56
        .size:           8
        .value_kind:     by_value
      - .offset:         64
        .size:           4
        .value_kind:     by_value
    .group_segment_fixed_size: 0
    .kernarg_segment_align: 8
    .kernarg_segment_size: 68
    .language:       OpenCL C
    .language_version:
      - 2
      - 0
    .max_flat_workgroup_size: 256
    .name:           _ZL26rocblas_haxpy_mod_8_kernelILi256EfPKfPfEviT0_lT1_llT2_lli
    .private_segment_fixed_size: 0
    .sgpr_count:     24
    .sgpr_spill_count: 0
    .symbol:         _ZL26rocblas_haxpy_mod_8_kernelILi256EfPKfPfEviT0_lT1_llT2_lli.kd
    .uniform_work_group_size: 1
    .uses_dynamic_stack: false
    .vgpr_count:     6
    .vgpr_spill_count: 0
    .wavefront_size: 64
  - .args:
      - .offset:         0
        .size:           4
        .value_kind:     by_value
      - .address_space:  global
        .offset:         8
        .size:           8
        .value_kind:     global_buffer
      - .offset:         16
        .size:           8
        .value_kind:     by_value
      - .actual_access:  read_only
        .address_space:  global
        .offset:         24
        .size:           8
        .value_kind:     global_buffer
      - .offset:         32
        .size:           8
        .value_kind:     by_value
      - .offset:         40
        .size:           8
        .value_kind:     by_value
      - .address_space:  global
        .offset:         48
        .size:           8
        .value_kind:     global_buffer
      - .offset:         56
        .size:           8
        .value_kind:     by_value
      - .offset:         64
        .size:           8
        .value_kind:     by_value
      - .offset:         72
        .size:           4
        .value_kind:     by_value
    .group_segment_fixed_size: 0
    .kernarg_segment_align: 8
    .kernarg_segment_size: 76
    .language:       OpenCL C
    .language_version:
      - 2
      - 0
    .max_flat_workgroup_size: 256
    .name:           _ZL22rocblas_saxpy_2_kernelILi256EfPKfS1_PfEviT1_lT2_llT3_lli
    .private_segment_fixed_size: 0
    .sgpr_count:     22
    .sgpr_spill_count: 0
    .symbol:         _ZL22rocblas_saxpy_2_kernelILi256EfPKfS1_PfEviT1_lT2_llT3_lli.kd
    .uniform_work_group_size: 1
    .uses_dynamic_stack: false
    .vgpr_count:     10
    .vgpr_spill_count: 0
    .wavefront_size: 64
  - .args:
      - .offset:         0
        .size:           4
        .value_kind:     by_value
      - .offset:         4
        .size:           4
        .value_kind:     by_value
      - .offset:         8
        .size:           8
        .value_kind:     by_value
      - .actual_access:  read_only
        .address_space:  global
        .offset:         16
        .size:           8
        .value_kind:     global_buffer
      - .offset:         24
        .size:           8
        .value_kind:     by_value
      - .offset:         32
        .size:           8
        .value_kind:     by_value
      - .address_space:  global
        .offset:         40
        .size:           8
        .value_kind:     global_buffer
      - .offset:         48
        .size:           8
        .value_kind:     by_value
      - .offset:         56
        .size:           8
        .value_kind:     by_value
      - .offset:         64
        .size:           4
        .value_kind:     by_value
    .group_segment_fixed_size: 0
    .kernarg_segment_align: 8
    .kernarg_segment_size: 68
    .language:       OpenCL C
    .language_version:
      - 2
      - 0
    .max_flat_workgroup_size: 256
    .name:           _ZL22rocblas_saxpy_2_kernelILi256EffPKfPfEviT1_lT2_llT3_lli
    .private_segment_fixed_size: 0
    .sgpr_count:     22
    .sgpr_spill_count: 0
    .symbol:         _ZL22rocblas_saxpy_2_kernelILi256EffPKfPfEviT1_lT2_llT3_lli.kd
    .uniform_work_group_size: 1
    .uses_dynamic_stack: false
    .vgpr_count:     10
    .vgpr_spill_count: 0
    .wavefront_size: 64
  - .args:
      - .offset:         0
        .size:           4
        .value_kind:     by_value
      - .address_space:  global
        .offset:         8
        .size:           8
        .value_kind:     global_buffer
      - .offset:         16
        .size:           8
        .value_kind:     by_value
      - .address_space:  global
        .offset:         24
        .size:           8
        .value_kind:     global_buffer
      - .offset:         32
        .size:           8
        .value_kind:     by_value
      - .offset:         40
        .size:           4
        .value_kind:     by_value
      - .offset:         48
        .size:           8
        .value_kind:     by_value
      - .address_space:  global
        .offset:         56
        .size:           8
        .value_kind:     global_buffer
      - .offset:         64
        .size:           8
        .value_kind:     by_value
      - .offset:         72
        .size:           4
        .value_kind:     by_value
      - .offset:         80
        .size:           8
        .value_kind:     by_value
      - .offset:         88
        .size:           4
        .value_kind:     by_value
    .group_segment_fixed_size: 0
    .kernarg_segment_align: 8
    .kernarg_segment_size: 92
    .language:       OpenCL C
    .language_version:
      - 2
      - 0
    .max_flat_workgroup_size: 1024
    .name:           _ZL27rocblas_axpy_kernel_batchedIiLi128ELi8EfPKfS1_PfEviT3_lT4_lT_lT5_lS5_li
    .private_segment_fixed_size: 0
    .sgpr_count:     27
    .sgpr_spill_count: 0
    .symbol:         _ZL27rocblas_axpy_kernel_batchedIiLi128ELi8EfPKfS1_PfEviT3_lT4_lT_lT5_lS5_li.kd
    .uniform_work_group_size: 1
    .uses_dynamic_stack: false
    .vgpr_count:     13
    .vgpr_spill_count: 0
    .wavefront_size: 64
  - .args:
      - .offset:         0
        .size:           4
        .value_kind:     by_value
      - .offset:         4
        .size:           4
        .value_kind:     by_value
      - .offset:         8
        .size:           8
        .value_kind:     by_value
      - .address_space:  global
        .offset:         16
        .size:           8
        .value_kind:     global_buffer
      - .offset:         24
        .size:           8
        .value_kind:     by_value
      - .offset:         32
        .size:           4
        .value_kind:     by_value
      - .offset:         40
        .size:           8
        .value_kind:     by_value
      - .address_space:  global
        .offset:         48
        .size:           8
        .value_kind:     global_buffer
      - .offset:         56
        .size:           8
        .value_kind:     by_value
      - .offset:         64
        .size:           4
        .value_kind:     by_value
      - .offset:         72
        .size:           8
        .value_kind:     by_value
      - .offset:         80
        .size:           4
        .value_kind:     by_value
    .group_segment_fixed_size: 0
    .kernarg_segment_align: 8
    .kernarg_segment_size: 84
    .language:       OpenCL C
    .language_version:
      - 2
      - 0
    .max_flat_workgroup_size: 1024
    .name:           _ZL27rocblas_axpy_kernel_batchedIiLi128ELi8EffPKfPfEviT3_lT4_lT_lT5_lS5_li
    .private_segment_fixed_size: 0
    .sgpr_count:     24
    .sgpr_spill_count: 0
    .symbol:         _ZL27rocblas_axpy_kernel_batchedIiLi128ELi8EffPKfPfEviT3_lT4_lT_lT5_lS5_li.kd
    .uniform_work_group_size: 1
    .uses_dynamic_stack: false
    .vgpr_count:     12
    .vgpr_spill_count: 0
    .wavefront_size: 64
  - .args:
      - .offset:         0
        .size:           4
        .value_kind:     by_value
      - .address_space:  global
        .offset:         8
        .size:           8
        .value_kind:     global_buffer
      - .offset:         16
        .size:           8
        .value_kind:     by_value
      - .actual_access:  read_only
        .address_space:  global
        .offset:         24
        .size:           8
        .value_kind:     global_buffer
      - .offset:         32
        .size:           8
        .value_kind:     by_value
      - .offset:         40
        .size:           4
        .value_kind:     by_value
      - .offset:         48
        .size:           8
        .value_kind:     by_value
      - .address_space:  global
        .offset:         56
        .size:           8
        .value_kind:     global_buffer
      - .offset:         64
        .size:           8
        .value_kind:     by_value
      - .offset:         72
        .size:           4
        .value_kind:     by_value
      - .offset:         80
        .size:           8
        .value_kind:     by_value
      - .offset:         88
        .size:           4
        .value_kind:     by_value
    .group_segment_fixed_size: 0
    .kernarg_segment_align: 8
    .kernarg_segment_size: 92
    .language:       OpenCL C
    .language_version:
      - 2
      - 0
    .max_flat_workgroup_size: 256
    .name:           _ZL19rocblas_axpy_kernelIiLi256EfPKfS1_PfEviT2_lT3_lT_lT4_lS5_li
    .private_segment_fixed_size: 0
    .sgpr_count:     22
    .sgpr_spill_count: 0
    .symbol:         _ZL19rocblas_axpy_kernelIiLi256EfPKfS1_PfEviT2_lT3_lT_lT4_lS5_li.kd
    .uniform_work_group_size: 1
    .uses_dynamic_stack: false
    .vgpr_count:     7
    .vgpr_spill_count: 0
    .wavefront_size: 64
  - .args:
      - .offset:         0
        .size:           4
        .value_kind:     by_value
      - .offset:         4
        .size:           4
        .value_kind:     by_value
      - .offset:         8
        .size:           8
        .value_kind:     by_value
      - .actual_access:  read_only
        .address_space:  global
        .offset:         16
        .size:           8
        .value_kind:     global_buffer
      - .offset:         24
        .size:           8
        .value_kind:     by_value
      - .offset:         32
        .size:           4
        .value_kind:     by_value
      - .offset:         40
        .size:           8
        .value_kind:     by_value
      - .address_space:  global
        .offset:         48
        .size:           8
        .value_kind:     global_buffer
      - .offset:         56
        .size:           8
        .value_kind:     by_value
      - .offset:         64
        .size:           4
        .value_kind:     by_value
      - .offset:         72
        .size:           8
        .value_kind:     by_value
      - .offset:         80
        .size:           4
        .value_kind:     by_value
    .group_segment_fixed_size: 0
    .kernarg_segment_align: 8
    .kernarg_segment_size: 84
    .language:       OpenCL C
    .language_version:
      - 2
      - 0
    .max_flat_workgroup_size: 256
    .name:           _ZL19rocblas_axpy_kernelIiLi256EffPKfPfEviT2_lT3_lT_lT4_lS5_li
    .private_segment_fixed_size: 0
    .sgpr_count:     22
    .sgpr_spill_count: 0
    .symbol:         _ZL19rocblas_axpy_kernelIiLi256EffPKfPfEviT2_lT3_lT_lT4_lS5_li.kd
    .uniform_work_group_size: 1
    .uses_dynamic_stack: false
    .vgpr_count:     7
    .vgpr_spill_count: 0
    .wavefront_size: 64
  - .args:
      - .offset:         0
        .size:           4
        .value_kind:     by_value
      - .address_space:  global
        .offset:         8
        .size:           8
        .value_kind:     global_buffer
      - .offset:         16
        .size:           8
        .value_kind:     by_value
      - .address_space:  global
        .offset:         24
        .size:           8
        .value_kind:     global_buffer
      - .offset:         32
        .size:           8
        .value_kind:     by_value
      - .offset:         40
        .size:           8
        .value_kind:     by_value
      - .address_space:  global
        .offset:         48
        .size:           8
        .value_kind:     global_buffer
      - .offset:         56
        .size:           8
        .value_kind:     by_value
      - .offset:         64
        .size:           8
        .value_kind:     by_value
      - .offset:         72
        .size:           4
        .value_kind:     by_value
    .group_segment_fixed_size: 0
    .kernarg_segment_align: 8
    .kernarg_segment_size: 76
    .language:       OpenCL C
    .language_version:
      - 2
      - 0
    .max_flat_workgroup_size: 256
    .name:           _ZL26rocblas_haxpy_mlt_8_kernelILi256EPKDF16_PKdPdEviT0_lT1_llT2_lli
    .private_segment_fixed_size: 0
    .sgpr_count:     28
    .sgpr_spill_count: 0
    .symbol:         _ZL26rocblas_haxpy_mlt_8_kernelILi256EPKDF16_PKdPdEviT0_lT1_llT2_lli.kd
    .uniform_work_group_size: 1
    .uses_dynamic_stack: false
    .vgpr_count:     13
    .vgpr_spill_count: 0
    .wavefront_size: 64
  - .args:
      - .offset:         0
        .size:           4
        .value_kind:     by_value
      - .address_space:  global
        .offset:         8
        .size:           8
        .value_kind:     global_buffer
      - .offset:         16
        .size:           8
        .value_kind:     by_value
      - .address_space:  global
        .offset:         24
        .size:           8
        .value_kind:     global_buffer
      - .offset:         32
        .size:           8
        .value_kind:     by_value
      - .offset:         40
        .size:           8
        .value_kind:     by_value
      - .address_space:  global
        .offset:         48
        .size:           8
        .value_kind:     global_buffer
      - .offset:         56
        .size:           8
        .value_kind:     by_value
      - .offset:         64
        .size:           8
        .value_kind:     by_value
      - .offset:         72
        .size:           4
        .value_kind:     by_value
    .group_segment_fixed_size: 0
    .kernarg_segment_align: 8
    .kernarg_segment_size: 76
    .language:       OpenCL C
    .language_version:
      - 2
      - 0
    .max_flat_workgroup_size: 256
    .name:           _ZL26rocblas_haxpy_mod_8_kernelILi256EPKdS1_PdEviT0_lT1_llT2_lli
    .private_segment_fixed_size: 0
    .sgpr_count:     28
    .sgpr_spill_count: 0
    .symbol:         _ZL26rocblas_haxpy_mod_8_kernelILi256EPKdS1_PdEviT0_lT1_llT2_lli.kd
    .uniform_work_group_size: 1
    .uses_dynamic_stack: false
    .vgpr_count:     8
    .vgpr_spill_count: 0
    .wavefront_size: 64
  - .args:
      - .offset:         0
        .size:           4
        .value_kind:     by_value
      - .offset:         4
        .size:           2
        .value_kind:     by_value
      - .offset:         8
        .size:           8
        .value_kind:     by_value
      - .address_space:  global
        .offset:         16
        .size:           8
        .value_kind:     global_buffer
      - .offset:         24
        .size:           8
        .value_kind:     by_value
      - .offset:         32
        .size:           8
        .value_kind:     by_value
      - .address_space:  global
        .offset:         40
        .size:           8
        .value_kind:     global_buffer
      - .offset:         48
        .size:           8
        .value_kind:     by_value
      - .offset:         56
        .size:           8
        .value_kind:     by_value
      - .offset:         64
        .size:           4
        .value_kind:     by_value
    .group_segment_fixed_size: 0
    .kernarg_segment_align: 8
    .kernarg_segment_size: 68
    .language:       OpenCL C
    .language_version:
      - 2
      - 0
    .max_flat_workgroup_size: 256
    .name:           _ZL26rocblas_haxpy_mlt_8_kernelILi256EDF16_PKdPdEviT0_lT1_llT2_lli
    .private_segment_fixed_size: 0
    .sgpr_count:     24
    .sgpr_spill_count: 0
    .symbol:         _ZL26rocblas_haxpy_mlt_8_kernelILi256EDF16_PKdPdEviT0_lT1_llT2_lli.kd
    .uniform_work_group_size: 1
    .uses_dynamic_stack: false
    .vgpr_count:     12
    .vgpr_spill_count: 0
    .wavefront_size: 64
  - .args:
      - .offset:         0
        .size:           4
        .value_kind:     by_value
      - .offset:         8
        .size:           8
        .value_kind:     by_value
      - .offset:         16
        .size:           8
        .value_kind:     by_value
      - .address_space:  global
        .offset:         24
        .size:           8
        .value_kind:     global_buffer
      - .offset:         32
        .size:           8
        .value_kind:     by_value
      - .offset:         40
        .size:           8
        .value_kind:     by_value
      - .address_space:  global
        .offset:         48
        .size:           8
        .value_kind:     global_buffer
      - .offset:         56
        .size:           8
        .value_kind:     by_value
      - .offset:         64
        .size:           8
        .value_kind:     by_value
      - .offset:         72
        .size:           4
        .value_kind:     by_value
    .group_segment_fixed_size: 0
    .kernarg_segment_align: 8
    .kernarg_segment_size: 76
    .language:       OpenCL C
    .language_version:
      - 2
      - 0
    .max_flat_workgroup_size: 256
    .name:           _ZL26rocblas_haxpy_mod_8_kernelILi256EdPKdPdEviT0_lT1_llT2_lli
    .private_segment_fixed_size: 0
    .sgpr_count:     24
    .sgpr_spill_count: 0
    .symbol:         _ZL26rocblas_haxpy_mod_8_kernelILi256EdPKdPdEviT0_lT1_llT2_lli.kd
    .uniform_work_group_size: 1
    .uses_dynamic_stack: false
    .vgpr_count:     8
    .vgpr_spill_count: 0
    .wavefront_size: 64
  - .args:
      - .offset:         0
        .size:           4
        .value_kind:     by_value
      - .address_space:  global
        .offset:         8
        .size:           8
        .value_kind:     global_buffer
      - .offset:         16
        .size:           8
        .value_kind:     by_value
      - .actual_access:  read_only
        .address_space:  global
        .offset:         24
        .size:           8
        .value_kind:     global_buffer
      - .offset:         32
        .size:           8
        .value_kind:     by_value
      - .offset:         40
        .size:           8
        .value_kind:     by_value
      - .address_space:  global
        .offset:         48
        .size:           8
        .value_kind:     global_buffer
      - .offset:         56
        .size:           8
        .value_kind:     by_value
      - .offset:         64
        .size:           8
        .value_kind:     by_value
      - .offset:         72
        .size:           4
        .value_kind:     by_value
    .group_segment_fixed_size: 0
    .kernarg_segment_align: 8
    .kernarg_segment_size: 76
    .language:       OpenCL C
    .language_version:
      - 2
      - 0
    .max_flat_workgroup_size: 256
    .name:           _ZL22rocblas_saxpy_2_kernelILi256EdPKdS1_PdEviT1_lT2_llT3_lli
    .private_segment_fixed_size: 0
    .sgpr_count:     24
    .sgpr_spill_count: 0
    .symbol:         _ZL22rocblas_saxpy_2_kernelILi256EdPKdS1_PdEviT1_lT2_llT3_lli.kd
    .uniform_work_group_size: 1
    .uses_dynamic_stack: false
    .vgpr_count:     14
    .vgpr_spill_count: 0
    .wavefront_size: 64
  - .args:
      - .offset:         0
        .size:           4
        .value_kind:     by_value
      - .offset:         8
        .size:           8
        .value_kind:     by_value
      - .offset:         16
        .size:           8
        .value_kind:     by_value
      - .actual_access:  read_only
        .address_space:  global
        .offset:         24
        .size:           8
        .value_kind:     global_buffer
      - .offset:         32
        .size:           8
        .value_kind:     by_value
      - .offset:         40
        .size:           8
        .value_kind:     by_value
      - .address_space:  global
        .offset:         48
        .size:           8
        .value_kind:     global_buffer
      - .offset:         56
        .size:           8
        .value_kind:     by_value
      - .offset:         64
        .size:           8
        .value_kind:     by_value
      - .offset:         72
        .size:           4
        .value_kind:     by_value
    .group_segment_fixed_size: 0
    .kernarg_segment_align: 8
    .kernarg_segment_size: 76
    .language:       OpenCL C
    .language_version:
      - 2
      - 0
    .max_flat_workgroup_size: 256
    .name:           _ZL22rocblas_saxpy_2_kernelILi256EddPKdPdEviT1_lT2_llT3_lli
    .private_segment_fixed_size: 0
    .sgpr_count:     24
    .sgpr_spill_count: 0
    .symbol:         _ZL22rocblas_saxpy_2_kernelILi256EddPKdPdEviT1_lT2_llT3_lli.kd
    .uniform_work_group_size: 1
    .uses_dynamic_stack: false
    .vgpr_count:     14
    .vgpr_spill_count: 0
    .wavefront_size: 64
  - .args:
      - .offset:         0
        .size:           4
        .value_kind:     by_value
      - .address_space:  global
        .offset:         8
        .size:           8
        .value_kind:     global_buffer
      - .offset:         16
        .size:           8
        .value_kind:     by_value
      - .address_space:  global
        .offset:         24
        .size:           8
        .value_kind:     global_buffer
      - .offset:         32
        .size:           8
        .value_kind:     by_value
      - .offset:         40
        .size:           4
        .value_kind:     by_value
      - .offset:         48
        .size:           8
        .value_kind:     by_value
      - .address_space:  global
        .offset:         56
        .size:           8
        .value_kind:     global_buffer
      - .offset:         64
        .size:           8
        .value_kind:     by_value
      - .offset:         72
        .size:           4
        .value_kind:     by_value
      - .offset:         80
        .size:           8
        .value_kind:     by_value
      - .offset:         88
        .size:           4
        .value_kind:     by_value
    .group_segment_fixed_size: 0
    .kernarg_segment_align: 8
    .kernarg_segment_size: 92
    .language:       OpenCL C
    .language_version:
      - 2
      - 0
    .max_flat_workgroup_size: 1024
    .name:           _ZL27rocblas_axpy_kernel_batchedIiLi128ELi8EdPKdS1_PdEviT3_lT4_lT_lT5_lS5_li
    .private_segment_fixed_size: 0
    .sgpr_count:     27
    .sgpr_spill_count: 0
    .symbol:         _ZL27rocblas_axpy_kernel_batchedIiLi128ELi8EdPKdS1_PdEviT3_lT4_lT_lT5_lS5_li.kd
    .uniform_work_group_size: 1
    .uses_dynamic_stack: false
    .vgpr_count:     15
    .vgpr_spill_count: 0
    .wavefront_size: 64
  - .args:
      - .offset:         0
        .size:           4
        .value_kind:     by_value
      - .offset:         8
        .size:           8
        .value_kind:     by_value
      - .offset:         16
        .size:           8
        .value_kind:     by_value
      - .address_space:  global
        .offset:         24
        .size:           8
        .value_kind:     global_buffer
      - .offset:         32
        .size:           8
        .value_kind:     by_value
      - .offset:         40
        .size:           4
        .value_kind:     by_value
      - .offset:         48
        .size:           8
        .value_kind:     by_value
      - .address_space:  global
        .offset:         56
        .size:           8
        .value_kind:     global_buffer
      - .offset:         64
        .size:           8
        .value_kind:     by_value
      - .offset:         72
        .size:           4
        .value_kind:     by_value
      - .offset:         80
        .size:           8
        .value_kind:     by_value
      - .offset:         88
        .size:           4
        .value_kind:     by_value
    .group_segment_fixed_size: 0
    .kernarg_segment_align: 8
    .kernarg_segment_size: 92
    .language:       OpenCL C
    .language_version:
      - 2
      - 0
    .max_flat_workgroup_size: 1024
    .name:           _ZL27rocblas_axpy_kernel_batchedIiLi128ELi8EddPKdPdEviT3_lT4_lT_lT5_lS5_li
    .private_segment_fixed_size: 0
    .sgpr_count:     25
    .sgpr_spill_count: 0
    .symbol:         _ZL27rocblas_axpy_kernel_batchedIiLi128ELi8EddPKdPdEviT3_lT4_lT_lT5_lS5_li.kd
    .uniform_work_group_size: 1
    .uses_dynamic_stack: false
    .vgpr_count:     13
    .vgpr_spill_count: 0
    .wavefront_size: 64
  - .args:
      - .offset:         0
        .size:           4
        .value_kind:     by_value
      - .address_space:  global
        .offset:         8
        .size:           8
        .value_kind:     global_buffer
      - .offset:         16
        .size:           8
        .value_kind:     by_value
      - .actual_access:  read_only
        .address_space:  global
        .offset:         24
        .size:           8
        .value_kind:     global_buffer
      - .offset:         32
        .size:           8
        .value_kind:     by_value
      - .offset:         40
        .size:           4
        .value_kind:     by_value
      - .offset:         48
        .size:           8
        .value_kind:     by_value
      - .address_space:  global
        .offset:         56
        .size:           8
        .value_kind:     global_buffer
      - .offset:         64
        .size:           8
        .value_kind:     by_value
      - .offset:         72
        .size:           4
        .value_kind:     by_value
      - .offset:         80
        .size:           8
        .value_kind:     by_value
      - .offset:         88
        .size:           4
        .value_kind:     by_value
    .group_segment_fixed_size: 0
    .kernarg_segment_align: 8
    .kernarg_segment_size: 92
    .language:       OpenCL C
    .language_version:
      - 2
      - 0
    .max_flat_workgroup_size: 256
    .name:           _ZL19rocblas_axpy_kernelIiLi256EdPKdS1_PdEviT2_lT3_lT_lT4_lS5_li
    .private_segment_fixed_size: 0
    .sgpr_count:     23
    .sgpr_spill_count: 0
    .symbol:         _ZL19rocblas_axpy_kernelIiLi256EdPKdS1_PdEviT2_lT3_lT_lT4_lS5_li.kd
    .uniform_work_group_size: 1
    .uses_dynamic_stack: false
    .vgpr_count:     8
    .vgpr_spill_count: 0
    .wavefront_size: 64
  - .args:
      - .offset:         0
        .size:           4
        .value_kind:     by_value
      - .offset:         8
        .size:           8
        .value_kind:     by_value
      - .offset:         16
        .size:           8
        .value_kind:     by_value
      - .actual_access:  read_only
        .address_space:  global
        .offset:         24
        .size:           8
        .value_kind:     global_buffer
      - .offset:         32
        .size:           8
        .value_kind:     by_value
      - .offset:         40
        .size:           4
        .value_kind:     by_value
      - .offset:         48
        .size:           8
        .value_kind:     by_value
      - .address_space:  global
        .offset:         56
        .size:           8
        .value_kind:     global_buffer
      - .offset:         64
        .size:           8
        .value_kind:     by_value
      - .offset:         72
        .size:           4
        .value_kind:     by_value
      - .offset:         80
        .size:           8
        .value_kind:     by_value
      - .offset:         88
        .size:           4
        .value_kind:     by_value
    .group_segment_fixed_size: 0
    .kernarg_segment_align: 8
    .kernarg_segment_size: 92
    .language:       OpenCL C
    .language_version:
      - 2
      - 0
    .max_flat_workgroup_size: 256
    .name:           _ZL19rocblas_axpy_kernelIiLi256EddPKdPdEviT2_lT3_lT_lT4_lS5_li
    .private_segment_fixed_size: 0
    .sgpr_count:     23
    .sgpr_spill_count: 0
    .symbol:         _ZL19rocblas_axpy_kernelIiLi256EddPKdPdEviT2_lT3_lT_lT4_lS5_li.kd
    .uniform_work_group_size: 1
    .uses_dynamic_stack: false
    .vgpr_count:     8
    .vgpr_spill_count: 0
    .wavefront_size: 64
  - .args:
      - .offset:         0
        .size:           4
        .value_kind:     by_value
      - .address_space:  global
        .offset:         8
        .size:           8
        .value_kind:     global_buffer
      - .offset:         16
        .size:           8
        .value_kind:     by_value
      - .address_space:  global
        .offset:         24
        .size:           8
        .value_kind:     global_buffer
      - .offset:         32
        .size:           8
        .value_kind:     by_value
      - .offset:         40
        .size:           8
        .value_kind:     by_value
      - .address_space:  global
        .offset:         48
        .size:           8
        .value_kind:     global_buffer
      - .offset:         56
        .size:           8
        .value_kind:     by_value
      - .offset:         64
        .size:           8
        .value_kind:     by_value
      - .offset:         72
        .size:           4
        .value_kind:     by_value
    .group_segment_fixed_size: 0
    .kernarg_segment_align: 8
    .kernarg_segment_size: 76
    .language:       OpenCL C
    .language_version:
      - 2
      - 0
    .max_flat_workgroup_size: 256
    .name:           _ZL26rocblas_haxpy_mlt_8_kernelILi256EPKDF16_PK19rocblas_complex_numIfEPS3_EviT0_lT1_llT2_lli
    .private_segment_fixed_size: 0
    .sgpr_count:     28
    .sgpr_spill_count: 0
    .symbol:         _ZL26rocblas_haxpy_mlt_8_kernelILi256EPKDF16_PK19rocblas_complex_numIfEPS3_EviT0_lT1_llT2_lli.kd
    .uniform_work_group_size: 1
    .uses_dynamic_stack: false
    .vgpr_count:     13
    .vgpr_spill_count: 0
    .wavefront_size: 64
  - .args:
      - .offset:         0
        .size:           4
        .value_kind:     by_value
      - .address_space:  global
        .offset:         8
        .size:           8
        .value_kind:     global_buffer
      - .offset:         16
        .size:           8
        .value_kind:     by_value
      - .address_space:  global
        .offset:         24
        .size:           8
        .value_kind:     global_buffer
      - .offset:         32
        .size:           8
        .value_kind:     by_value
      - .offset:         40
        .size:           8
        .value_kind:     by_value
      - .address_space:  global
        .offset:         48
        .size:           8
        .value_kind:     global_buffer
      - .offset:         56
        .size:           8
        .value_kind:     by_value
      - .offset:         64
        .size:           8
        .value_kind:     by_value
      - .offset:         72
        .size:           4
        .value_kind:     by_value
    .group_segment_fixed_size: 0
    .kernarg_segment_align: 8
    .kernarg_segment_size: 76
    .language:       OpenCL C
    .language_version:
      - 2
      - 0
    .max_flat_workgroup_size: 256
    .name:           _ZL26rocblas_haxpy_mod_8_kernelILi256EPK19rocblas_complex_numIfES3_PS1_EviT0_lT1_llT2_lli
    .private_segment_fixed_size: 0
    .sgpr_count:     28
    .sgpr_spill_count: 0
    .symbol:         _ZL26rocblas_haxpy_mod_8_kernelILi256EPK19rocblas_complex_numIfES3_PS1_EviT0_lT1_llT2_lli.kd
    .uniform_work_group_size: 1
    .uses_dynamic_stack: false
    .vgpr_count:     7
    .vgpr_spill_count: 0
    .wavefront_size: 64
  - .args:
      - .offset:         0
        .size:           4
        .value_kind:     by_value
      - .offset:         4
        .size:           2
        .value_kind:     by_value
      - .offset:         8
        .size:           8
        .value_kind:     by_value
      - .address_space:  global
        .offset:         16
        .size:           8
        .value_kind:     global_buffer
      - .offset:         24
        .size:           8
        .value_kind:     by_value
      - .offset:         32
        .size:           8
        .value_kind:     by_value
      - .address_space:  global
        .offset:         40
        .size:           8
        .value_kind:     global_buffer
      - .offset:         48
        .size:           8
        .value_kind:     by_value
      - .offset:         56
        .size:           8
        .value_kind:     by_value
      - .offset:         64
        .size:           4
        .value_kind:     by_value
    .group_segment_fixed_size: 0
    .kernarg_segment_align: 8
    .kernarg_segment_size: 68
    .language:       OpenCL C
    .language_version:
      - 2
      - 0
    .max_flat_workgroup_size: 256
    .name:           _ZL26rocblas_haxpy_mlt_8_kernelILi256EDF16_PK19rocblas_complex_numIfEPS1_EviT0_lT1_llT2_lli
    .private_segment_fixed_size: 0
    .sgpr_count:     24
    .sgpr_spill_count: 0
    .symbol:         _ZL26rocblas_haxpy_mlt_8_kernelILi256EDF16_PK19rocblas_complex_numIfEPS1_EviT0_lT1_llT2_lli.kd
    .uniform_work_group_size: 1
    .uses_dynamic_stack: false
    .vgpr_count:     12
    .vgpr_spill_count: 0
    .wavefront_size: 64
  - .args:
      - .offset:         0
        .size:           4
        .value_kind:     by_value
      - .offset:         4
        .size:           8
        .value_kind:     by_value
      - .offset:         16
        .size:           8
        .value_kind:     by_value
      - .address_space:  global
        .offset:         24
        .size:           8
        .value_kind:     global_buffer
      - .offset:         32
        .size:           8
        .value_kind:     by_value
      - .offset:         40
        .size:           8
        .value_kind:     by_value
      - .address_space:  global
        .offset:         48
        .size:           8
        .value_kind:     global_buffer
      - .offset:         56
        .size:           8
        .value_kind:     by_value
      - .offset:         64
        .size:           8
        .value_kind:     by_value
      - .offset:         72
        .size:           4
        .value_kind:     by_value
    .group_segment_fixed_size: 0
    .kernarg_segment_align: 8
    .kernarg_segment_size: 76
    .language:       OpenCL C
    .language_version:
      - 2
      - 0
    .max_flat_workgroup_size: 256
    .name:           _ZL26rocblas_haxpy_mod_8_kernelILi256E19rocblas_complex_numIfEPKS1_PS1_EviT0_lT1_llT2_lli
    .private_segment_fixed_size: 0
    .sgpr_count:     24
    .sgpr_spill_count: 0
    .symbol:         _ZL26rocblas_haxpy_mod_8_kernelILi256E19rocblas_complex_numIfEPKS1_PS1_EviT0_lT1_llT2_lli.kd
    .uniform_work_group_size: 1
    .uses_dynamic_stack: false
    .vgpr_count:     7
    .vgpr_spill_count: 0
    .wavefront_size: 64
  - .args:
      - .offset:         0
        .size:           4
        .value_kind:     by_value
      - .address_space:  global
        .offset:         8
        .size:           8
        .value_kind:     global_buffer
      - .offset:         16
        .size:           8
        .value_kind:     by_value
      - .actual_access:  read_only
        .address_space:  global
        .offset:         24
        .size:           8
        .value_kind:     global_buffer
      - .offset:         32
        .size:           8
        .value_kind:     by_value
      - .offset:         40
        .size:           8
        .value_kind:     by_value
      - .address_space:  global
        .offset:         48
        .size:           8
        .value_kind:     global_buffer
      - .offset:         56
        .size:           8
        .value_kind:     by_value
      - .offset:         64
        .size:           8
        .value_kind:     by_value
      - .offset:         72
        .size:           4
        .value_kind:     by_value
    .group_segment_fixed_size: 0
    .kernarg_segment_align: 8
    .kernarg_segment_size: 76
    .language:       OpenCL C
    .language_version:
      - 2
      - 0
    .max_flat_workgroup_size: 256
    .name:           _ZL22rocblas_saxpy_2_kernelILi256E19rocblas_complex_numIfEPKS1_S3_PS1_EviT1_lT2_llT3_lli
    .private_segment_fixed_size: 0
    .sgpr_count:     24
    .sgpr_spill_count: 0
    .symbol:         _ZL22rocblas_saxpy_2_kernelILi256E19rocblas_complex_numIfEPKS1_S3_PS1_EviT1_lT2_llT3_lli.kd
    .uniform_work_group_size: 1
    .uses_dynamic_stack: false
    .vgpr_count:     16
    .vgpr_spill_count: 0
    .wavefront_size: 64
  - .args:
      - .offset:         0
        .size:           4
        .value_kind:     by_value
      - .offset:         4
        .size:           8
        .value_kind:     by_value
      - .offset:         16
        .size:           8
        .value_kind:     by_value
      - .actual_access:  read_only
        .address_space:  global
        .offset:         24
        .size:           8
        .value_kind:     global_buffer
      - .offset:         32
        .size:           8
        .value_kind:     by_value
      - .offset:         40
        .size:           8
        .value_kind:     by_value
      - .address_space:  global
        .offset:         48
        .size:           8
        .value_kind:     global_buffer
      - .offset:         56
        .size:           8
        .value_kind:     by_value
      - .offset:         64
        .size:           8
        .value_kind:     by_value
      - .offset:         72
        .size:           4
        .value_kind:     by_value
    .group_segment_fixed_size: 0
    .kernarg_segment_align: 8
    .kernarg_segment_size: 76
    .language:       OpenCL C
    .language_version:
      - 2
      - 0
    .max_flat_workgroup_size: 256
    .name:           _ZL22rocblas_saxpy_2_kernelILi256E19rocblas_complex_numIfES1_PKS1_PS1_EviT1_lT2_llT3_lli
    .private_segment_fixed_size: 0
    .sgpr_count:     24
    .sgpr_spill_count: 0
    .symbol:         _ZL22rocblas_saxpy_2_kernelILi256E19rocblas_complex_numIfES1_PKS1_PS1_EviT1_lT2_llT3_lli.kd
    .uniform_work_group_size: 1
    .uses_dynamic_stack: false
    .vgpr_count:     16
    .vgpr_spill_count: 0
    .wavefront_size: 64
  - .args:
      - .offset:         0
        .size:           4
        .value_kind:     by_value
      - .address_space:  global
        .offset:         8
        .size:           8
        .value_kind:     global_buffer
      - .offset:         16
        .size:           8
        .value_kind:     by_value
      - .address_space:  global
        .offset:         24
        .size:           8
        .value_kind:     global_buffer
      - .offset:         32
        .size:           8
        .value_kind:     by_value
      - .offset:         40
        .size:           4
        .value_kind:     by_value
      - .offset:         48
        .size:           8
        .value_kind:     by_value
      - .address_space:  global
        .offset:         56
        .size:           8
        .value_kind:     global_buffer
      - .offset:         64
        .size:           8
        .value_kind:     by_value
      - .offset:         72
        .size:           4
        .value_kind:     by_value
      - .offset:         80
        .size:           8
        .value_kind:     by_value
      - .offset:         88
        .size:           4
        .value_kind:     by_value
    .group_segment_fixed_size: 0
    .kernarg_segment_align: 8
    .kernarg_segment_size: 92
    .language:       OpenCL C
    .language_version:
      - 2
      - 0
    .max_flat_workgroup_size: 1024
    .name:           _ZL27rocblas_axpy_kernel_batchedIiLi128ELi8E19rocblas_complex_numIfEPKS1_S3_PS1_EviT3_lT4_lT_lT5_lS7_li
    .private_segment_fixed_size: 0
    .sgpr_count:     27
    .sgpr_spill_count: 0
    .symbol:         _ZL27rocblas_axpy_kernel_batchedIiLi128ELi8E19rocblas_complex_numIfEPKS1_S3_PS1_EviT3_lT4_lT_lT5_lS7_li.kd
    .uniform_work_group_size: 1
    .uses_dynamic_stack: false
    .vgpr_count:     14
    .vgpr_spill_count: 0
    .wavefront_size: 64
  - .args:
      - .offset:         0
        .size:           4
        .value_kind:     by_value
      - .offset:         4
        .size:           8
        .value_kind:     by_value
      - .offset:         16
        .size:           8
        .value_kind:     by_value
      - .address_space:  global
        .offset:         24
        .size:           8
        .value_kind:     global_buffer
      - .offset:         32
        .size:           8
        .value_kind:     by_value
      - .offset:         40
        .size:           4
        .value_kind:     by_value
      - .offset:         48
        .size:           8
        .value_kind:     by_value
      - .address_space:  global
        .offset:         56
        .size:           8
        .value_kind:     global_buffer
      - .offset:         64
        .size:           8
        .value_kind:     by_value
      - .offset:         72
        .size:           4
        .value_kind:     by_value
      - .offset:         80
        .size:           8
        .value_kind:     by_value
      - .offset:         88
        .size:           4
        .value_kind:     by_value
    .group_segment_fixed_size: 0
    .kernarg_segment_align: 8
    .kernarg_segment_size: 92
    .language:       OpenCL C
    .language_version:
      - 2
      - 0
    .max_flat_workgroup_size: 1024
    .name:           _ZL27rocblas_axpy_kernel_batchedIiLi128ELi8E19rocblas_complex_numIfES1_PKS1_PS1_EviT3_lT4_lT_lT5_lS7_li
    .private_segment_fixed_size: 0
    .sgpr_count:     25
    .sgpr_spill_count: 0
    .symbol:         _ZL27rocblas_axpy_kernel_batchedIiLi128ELi8E19rocblas_complex_numIfES1_PKS1_PS1_EviT3_lT4_lT_lT5_lS7_li.kd
    .uniform_work_group_size: 1
    .uses_dynamic_stack: false
    .vgpr_count:     12
    .vgpr_spill_count: 0
    .wavefront_size: 64
  - .args:
      - .offset:         0
        .size:           4
        .value_kind:     by_value
      - .address_space:  global
        .offset:         8
        .size:           8
        .value_kind:     global_buffer
      - .offset:         16
        .size:           8
        .value_kind:     by_value
      - .actual_access:  read_only
        .address_space:  global
        .offset:         24
        .size:           8
        .value_kind:     global_buffer
      - .offset:         32
        .size:           8
        .value_kind:     by_value
      - .offset:         40
        .size:           4
        .value_kind:     by_value
      - .offset:         48
        .size:           8
        .value_kind:     by_value
      - .address_space:  global
        .offset:         56
        .size:           8
        .value_kind:     global_buffer
      - .offset:         64
        .size:           8
        .value_kind:     by_value
      - .offset:         72
        .size:           4
        .value_kind:     by_value
      - .offset:         80
        .size:           8
        .value_kind:     by_value
      - .offset:         88
        .size:           4
        .value_kind:     by_value
    .group_segment_fixed_size: 0
    .kernarg_segment_align: 8
    .kernarg_segment_size: 92
    .language:       OpenCL C
    .language_version:
      - 2
      - 0
    .max_flat_workgroup_size: 256
    .name:           _ZL19rocblas_axpy_kernelIiLi256E19rocblas_complex_numIfEPKS1_S3_PS1_EviT2_lT3_lT_lT4_lS7_li
    .private_segment_fixed_size: 0
    .sgpr_count:     23
    .sgpr_spill_count: 0
    .symbol:         _ZL19rocblas_axpy_kernelIiLi256E19rocblas_complex_numIfEPKS1_S3_PS1_EviT2_lT3_lT_lT4_lS7_li.kd
    .uniform_work_group_size: 1
    .uses_dynamic_stack: false
    .vgpr_count:     7
    .vgpr_spill_count: 0
    .wavefront_size: 64
  - .args:
      - .offset:         0
        .size:           4
        .value_kind:     by_value
      - .offset:         4
        .size:           8
        .value_kind:     by_value
      - .offset:         16
        .size:           8
        .value_kind:     by_value
      - .actual_access:  read_only
        .address_space:  global
        .offset:         24
        .size:           8
        .value_kind:     global_buffer
      - .offset:         32
        .size:           8
        .value_kind:     by_value
      - .offset:         40
        .size:           4
        .value_kind:     by_value
      - .offset:         48
        .size:           8
        .value_kind:     by_value
      - .address_space:  global
        .offset:         56
        .size:           8
        .value_kind:     global_buffer
      - .offset:         64
        .size:           8
        .value_kind:     by_value
      - .offset:         72
        .size:           4
        .value_kind:     by_value
      - .offset:         80
        .size:           8
        .value_kind:     by_value
      - .offset:         88
        .size:           4
        .value_kind:     by_value
    .group_segment_fixed_size: 0
    .kernarg_segment_align: 8
    .kernarg_segment_size: 92
    .language:       OpenCL C
    .language_version:
      - 2
      - 0
    .max_flat_workgroup_size: 256
    .name:           _ZL19rocblas_axpy_kernelIiLi256E19rocblas_complex_numIfES1_PKS1_PS1_EviT2_lT3_lT_lT4_lS7_li
    .private_segment_fixed_size: 0
    .sgpr_count:     24
    .sgpr_spill_count: 0
    .symbol:         _ZL19rocblas_axpy_kernelIiLi256E19rocblas_complex_numIfES1_PKS1_PS1_EviT2_lT3_lT_lT4_lS7_li.kd
    .uniform_work_group_size: 1
    .uses_dynamic_stack: false
    .vgpr_count:     7
    .vgpr_spill_count: 0
    .wavefront_size: 64
  - .args:
      - .offset:         0
        .size:           4
        .value_kind:     by_value
      - .address_space:  global
        .offset:         8
        .size:           8
        .value_kind:     global_buffer
      - .offset:         16
        .size:           8
        .value_kind:     by_value
      - .address_space:  global
        .offset:         24
        .size:           8
        .value_kind:     global_buffer
      - .offset:         32
        .size:           8
        .value_kind:     by_value
      - .offset:         40
        .size:           8
        .value_kind:     by_value
      - .address_space:  global
        .offset:         48
        .size:           8
        .value_kind:     global_buffer
      - .offset:         56
        .size:           8
        .value_kind:     by_value
      - .offset:         64
        .size:           8
        .value_kind:     by_value
      - .offset:         72
        .size:           4
        .value_kind:     by_value
    .group_segment_fixed_size: 0
    .kernarg_segment_align: 8
    .kernarg_segment_size: 76
    .language:       OpenCL C
    .language_version:
      - 2
      - 0
    .max_flat_workgroup_size: 256
    .name:           _ZL26rocblas_haxpy_mlt_8_kernelILi256EPKDF16_PK19rocblas_complex_numIdEPS3_EviT0_lT1_llT2_lli
    .private_segment_fixed_size: 0
    .sgpr_count:     28
    .sgpr_spill_count: 0
    .symbol:         _ZL26rocblas_haxpy_mlt_8_kernelILi256EPKDF16_PK19rocblas_complex_numIdEPS3_EviT0_lT1_llT2_lli.kd
    .uniform_work_group_size: 1
    .uses_dynamic_stack: false
    .vgpr_count:     13
    .vgpr_spill_count: 0
    .wavefront_size: 64
  - .args:
      - .offset:         0
        .size:           4
        .value_kind:     by_value
      - .address_space:  global
        .offset:         8
        .size:           8
        .value_kind:     global_buffer
      - .offset:         16
        .size:           8
        .value_kind:     by_value
      - .address_space:  global
        .offset:         24
        .size:           8
        .value_kind:     global_buffer
      - .offset:         32
        .size:           8
        .value_kind:     by_value
      - .offset:         40
        .size:           8
        .value_kind:     by_value
      - .address_space:  global
        .offset:         48
        .size:           8
        .value_kind:     global_buffer
      - .offset:         56
        .size:           8
        .value_kind:     by_value
      - .offset:         64
        .size:           8
        .value_kind:     by_value
      - .offset:         72
        .size:           4
        .value_kind:     by_value
    .group_segment_fixed_size: 0
    .kernarg_segment_align: 8
    .kernarg_segment_size: 76
    .language:       OpenCL C
    .language_version:
      - 2
      - 0
    .max_flat_workgroup_size: 256
    .name:           _ZL26rocblas_haxpy_mod_8_kernelILi256EPK19rocblas_complex_numIdES3_PS1_EviT0_lT1_llT2_lli
    .private_segment_fixed_size: 0
    .sgpr_count:     30
    .sgpr_spill_count: 0
    .symbol:         _ZL26rocblas_haxpy_mod_8_kernelILi256EPK19rocblas_complex_numIdES3_PS1_EviT0_lT1_llT2_lli.kd
    .uniform_work_group_size: 1
    .uses_dynamic_stack: false
    .vgpr_count:     12
    .vgpr_spill_count: 0
    .wavefront_size: 64
  - .args:
      - .offset:         0
        .size:           4
        .value_kind:     by_value
      - .offset:         4
        .size:           2
        .value_kind:     by_value
      - .offset:         8
        .size:           8
        .value_kind:     by_value
      - .address_space:  global
        .offset:         16
        .size:           8
        .value_kind:     global_buffer
      - .offset:         24
        .size:           8
        .value_kind:     by_value
      - .offset:         32
        .size:           8
        .value_kind:     by_value
      - .address_space:  global
        .offset:         40
        .size:           8
        .value_kind:     global_buffer
      - .offset:         48
        .size:           8
        .value_kind:     by_value
      - .offset:         56
        .size:           8
        .value_kind:     by_value
      - .offset:         64
        .size:           4
        .value_kind:     by_value
    .group_segment_fixed_size: 0
    .kernarg_segment_align: 8
    .kernarg_segment_size: 68
    .language:       OpenCL C
    .language_version:
      - 2
      - 0
    .max_flat_workgroup_size: 256
    .name:           _ZL26rocblas_haxpy_mlt_8_kernelILi256EDF16_PK19rocblas_complex_numIdEPS1_EviT0_lT1_llT2_lli
    .private_segment_fixed_size: 0
    .sgpr_count:     24
    .sgpr_spill_count: 0
    .symbol:         _ZL26rocblas_haxpy_mlt_8_kernelILi256EDF16_PK19rocblas_complex_numIdEPS1_EviT0_lT1_llT2_lli.kd
    .uniform_work_group_size: 1
    .uses_dynamic_stack: false
    .vgpr_count:     12
    .vgpr_spill_count: 0
    .wavefront_size: 64
  - .args:
      - .offset:         0
        .size:           4
        .value_kind:     by_value
      - .offset:         8
        .size:           16
        .value_kind:     by_value
      - .offset:         24
        .size:           8
        .value_kind:     by_value
      - .address_space:  global
        .offset:         32
        .size:           8
        .value_kind:     global_buffer
      - .offset:         40
        .size:           8
        .value_kind:     by_value
      - .offset:         48
        .size:           8
        .value_kind:     by_value
      - .address_space:  global
        .offset:         56
        .size:           8
        .value_kind:     global_buffer
      - .offset:         64
        .size:           8
        .value_kind:     by_value
      - .offset:         72
        .size:           8
        .value_kind:     by_value
      - .offset:         80
        .size:           4
        .value_kind:     by_value
    .group_segment_fixed_size: 0
    .kernarg_segment_align: 8
    .kernarg_segment_size: 84
    .language:       OpenCL C
    .language_version:
      - 2
      - 0
    .max_flat_workgroup_size: 256
    .name:           _ZL26rocblas_haxpy_mod_8_kernelILi256E19rocblas_complex_numIdEPKS1_PS1_EviT0_lT1_llT2_lli
    .private_segment_fixed_size: 0
    .sgpr_count:     24
    .sgpr_spill_count: 0
    .symbol:         _ZL26rocblas_haxpy_mod_8_kernelILi256E19rocblas_complex_numIdEPKS1_PS1_EviT0_lT1_llT2_lli.kd
    .uniform_work_group_size: 1
    .uses_dynamic_stack: false
    .vgpr_count:     12
    .vgpr_spill_count: 0
    .wavefront_size: 64
  - .args:
      - .offset:         0
        .size:           4
        .value_kind:     by_value
      - .address_space:  global
        .offset:         8
        .size:           8
        .value_kind:     global_buffer
      - .offset:         16
        .size:           8
        .value_kind:     by_value
      - .actual_access:  read_only
        .address_space:  global
        .offset:         24
        .size:           8
        .value_kind:     global_buffer
      - .offset:         32
        .size:           8
        .value_kind:     by_value
      - .offset:         40
        .size:           8
        .value_kind:     by_value
      - .address_space:  global
        .offset:         48
        .size:           8
        .value_kind:     global_buffer
      - .offset:         56
        .size:           8
        .value_kind:     by_value
      - .offset:         64
        .size:           8
        .value_kind:     by_value
      - .offset:         72
        .size:           4
        .value_kind:     by_value
    .group_segment_fixed_size: 0
    .kernarg_segment_align: 8
    .kernarg_segment_size: 76
    .language:       OpenCL C
    .language_version:
      - 2
      - 0
    .max_flat_workgroup_size: 256
    .name:           _ZL22rocblas_saxpy_2_kernelILi256E19rocblas_complex_numIdEPKS1_S3_PS1_EviT1_lT2_llT3_lli
    .private_segment_fixed_size: 0
    .sgpr_count:     26
    .sgpr_spill_count: 0
    .symbol:         _ZL22rocblas_saxpy_2_kernelILi256E19rocblas_complex_numIdEPKS1_S3_PS1_EviT1_lT2_llT3_lli.kd
    .uniform_work_group_size: 1
    .uses_dynamic_stack: false
    .vgpr_count:     20
    .vgpr_spill_count: 0
    .wavefront_size: 64
  - .args:
      - .offset:         0
        .size:           4
        .value_kind:     by_value
      - .offset:         8
        .size:           16
        .value_kind:     by_value
      - .offset:         24
        .size:           8
        .value_kind:     by_value
      - .actual_access:  read_only
        .address_space:  global
        .offset:         32
        .size:           8
        .value_kind:     global_buffer
      - .offset:         40
        .size:           8
        .value_kind:     by_value
      - .offset:         48
        .size:           8
        .value_kind:     by_value
      - .address_space:  global
        .offset:         56
        .size:           8
        .value_kind:     global_buffer
      - .offset:         64
        .size:           8
        .value_kind:     by_value
      - .offset:         72
        .size:           8
        .value_kind:     by_value
      - .offset:         80
        .size:           4
        .value_kind:     by_value
    .group_segment_fixed_size: 0
    .kernarg_segment_align: 8
    .kernarg_segment_size: 84
    .language:       OpenCL C
    .language_version:
      - 2
      - 0
    .max_flat_workgroup_size: 256
    .name:           _ZL22rocblas_saxpy_2_kernelILi256E19rocblas_complex_numIdES1_PKS1_PS1_EviT1_lT2_llT3_lli
    .private_segment_fixed_size: 0
    .sgpr_count:     26
    .sgpr_spill_count: 0
    .symbol:         _ZL22rocblas_saxpy_2_kernelILi256E19rocblas_complex_numIdES1_PKS1_PS1_EviT1_lT2_llT3_lli.kd
    .uniform_work_group_size: 1
    .uses_dynamic_stack: false
    .vgpr_count:     20
    .vgpr_spill_count: 0
    .wavefront_size: 64
  - .args:
      - .offset:         0
        .size:           4
        .value_kind:     by_value
      - .address_space:  global
        .offset:         8
        .size:           8
        .value_kind:     global_buffer
      - .offset:         16
        .size:           8
        .value_kind:     by_value
      - .address_space:  global
        .offset:         24
        .size:           8
        .value_kind:     global_buffer
      - .offset:         32
        .size:           8
        .value_kind:     by_value
      - .offset:         40
        .size:           4
        .value_kind:     by_value
      - .offset:         48
        .size:           8
        .value_kind:     by_value
      - .address_space:  global
        .offset:         56
        .size:           8
        .value_kind:     global_buffer
      - .offset:         64
        .size:           8
        .value_kind:     by_value
      - .offset:         72
        .size:           4
        .value_kind:     by_value
      - .offset:         80
        .size:           8
        .value_kind:     by_value
      - .offset:         88
        .size:           4
        .value_kind:     by_value
    .group_segment_fixed_size: 0
    .kernarg_segment_align: 8
    .kernarg_segment_size: 92
    .language:       OpenCL C
    .language_version:
      - 2
      - 0
    .max_flat_workgroup_size: 1024
    .name:           _ZL27rocblas_axpy_kernel_batchedIiLi128ELi8E19rocblas_complex_numIdEPKS1_S3_PS1_EviT3_lT4_lT_lT5_lS7_li
    .private_segment_fixed_size: 0
    .sgpr_count:     27
    .sgpr_spill_count: 0
    .symbol:         _ZL27rocblas_axpy_kernel_batchedIiLi128ELi8E19rocblas_complex_numIdEPKS1_S3_PS1_EviT3_lT4_lT_lT5_lS7_li.kd
    .uniform_work_group_size: 1
    .uses_dynamic_stack: false
    .vgpr_count:     18
    .vgpr_spill_count: 0
    .wavefront_size: 64
  - .args:
      - .offset:         0
        .size:           4
        .value_kind:     by_value
      - .offset:         8
        .size:           16
        .value_kind:     by_value
      - .offset:         24
        .size:           8
        .value_kind:     by_value
      - .address_space:  global
        .offset:         32
        .size:           8
        .value_kind:     global_buffer
      - .offset:         40
        .size:           8
        .value_kind:     by_value
      - .offset:         48
        .size:           4
        .value_kind:     by_value
      - .offset:         56
        .size:           8
        .value_kind:     by_value
      - .address_space:  global
        .offset:         64
        .size:           8
        .value_kind:     global_buffer
      - .offset:         72
        .size:           8
        .value_kind:     by_value
      - .offset:         80
        .size:           4
        .value_kind:     by_value
      - .offset:         88
        .size:           8
        .value_kind:     by_value
      - .offset:         96
        .size:           4
        .value_kind:     by_value
    .group_segment_fixed_size: 0
    .kernarg_segment_align: 8
    .kernarg_segment_size: 100
    .language:       OpenCL C
    .language_version:
      - 2
      - 0
    .max_flat_workgroup_size: 1024
    .name:           _ZL27rocblas_axpy_kernel_batchedIiLi128ELi8E19rocblas_complex_numIdES1_PKS1_PS1_EviT3_lT4_lT_lT5_lS7_li
    .private_segment_fixed_size: 0
    .sgpr_count:     27
    .sgpr_spill_count: 0
    .symbol:         _ZL27rocblas_axpy_kernel_batchedIiLi128ELi8E19rocblas_complex_numIdES1_PKS1_PS1_EviT3_lT4_lT_lT5_lS7_li.kd
    .uniform_work_group_size: 1
    .uses_dynamic_stack: false
    .vgpr_count:     18
    .vgpr_spill_count: 0
    .wavefront_size: 64
  - .args:
      - .offset:         0
        .size:           4
        .value_kind:     by_value
      - .address_space:  global
        .offset:         8
        .size:           8
        .value_kind:     global_buffer
      - .offset:         16
        .size:           8
        .value_kind:     by_value
      - .actual_access:  read_only
        .address_space:  global
        .offset:         24
        .size:           8
        .value_kind:     global_buffer
      - .offset:         32
        .size:           8
        .value_kind:     by_value
      - .offset:         40
        .size:           4
        .value_kind:     by_value
      - .offset:         48
        .size:           8
        .value_kind:     by_value
      - .address_space:  global
        .offset:         56
        .size:           8
        .value_kind:     global_buffer
      - .offset:         64
        .size:           8
        .value_kind:     by_value
      - .offset:         72
        .size:           4
        .value_kind:     by_value
      - .offset:         80
        .size:           8
        .value_kind:     by_value
      - .offset:         88
        .size:           4
        .value_kind:     by_value
    .group_segment_fixed_size: 0
    .kernarg_segment_align: 8
    .kernarg_segment_size: 92
    .language:       OpenCL C
    .language_version:
      - 2
      - 0
    .max_flat_workgroup_size: 256
    .name:           _ZL19rocblas_axpy_kernelIiLi256E19rocblas_complex_numIdEPKS1_S3_PS1_EviT2_lT3_lT_lT4_lS7_li
    .private_segment_fixed_size: 0
    .sgpr_count:     25
    .sgpr_spill_count: 0
    .symbol:         _ZL19rocblas_axpy_kernelIiLi256E19rocblas_complex_numIdEPKS1_S3_PS1_EviT2_lT3_lT_lT4_lS7_li.kd
    .uniform_work_group_size: 1
    .uses_dynamic_stack: false
    .vgpr_count:     12
    .vgpr_spill_count: 0
    .wavefront_size: 64
  - .args:
      - .offset:         0
        .size:           4
        .value_kind:     by_value
      - .offset:         8
        .size:           16
        .value_kind:     by_value
      - .offset:         24
        .size:           8
        .value_kind:     by_value
      - .actual_access:  read_only
        .address_space:  global
        .offset:         32
        .size:           8
        .value_kind:     global_buffer
      - .offset:         40
        .size:           8
        .value_kind:     by_value
      - .offset:         48
        .size:           4
        .value_kind:     by_value
      - .offset:         56
        .size:           8
        .value_kind:     by_value
      - .address_space:  global
        .offset:         64
        .size:           8
        .value_kind:     global_buffer
      - .offset:         72
        .size:           8
        .value_kind:     by_value
      - .offset:         80
        .size:           4
        .value_kind:     by_value
      - .offset:         88
        .size:           8
        .value_kind:     by_value
      - .offset:         96
        .size:           4
        .value_kind:     by_value
    .group_segment_fixed_size: 0
    .kernarg_segment_align: 8
    .kernarg_segment_size: 100
    .language:       OpenCL C
    .language_version:
      - 2
      - 0
    .max_flat_workgroup_size: 256
    .name:           _ZL19rocblas_axpy_kernelIiLi256E19rocblas_complex_numIdES1_PKS1_PS1_EviT2_lT3_lT_lT4_lS7_li
    .private_segment_fixed_size: 0
    .sgpr_count:     25
    .sgpr_spill_count: 0
    .symbol:         _ZL19rocblas_axpy_kernelIiLi256E19rocblas_complex_numIdES1_PKS1_PS1_EviT2_lT3_lT_lT4_lS7_li.kd
    .uniform_work_group_size: 1
    .uses_dynamic_stack: false
    .vgpr_count:     12
    .vgpr_spill_count: 0
    .wavefront_size: 64
  - .args:
      - .offset:         0
        .size:           4
        .value_kind:     by_value
      - .address_space:  global
        .offset:         8
        .size:           8
        .value_kind:     global_buffer
      - .offset:         16
        .size:           8
        .value_kind:     by_value
      - .actual_access:  read_only
        .address_space:  global
        .offset:         24
        .size:           8
        .value_kind:     global_buffer
      - .offset:         32
        .size:           8
        .value_kind:     by_value
      - .offset:         40
        .size:           8
        .value_kind:     by_value
      - .actual_access:  read_only
        .address_space:  global
        .offset:         48
        .size:           8
        .value_kind:     global_buffer
      - .offset:         56
        .size:           8
        .value_kind:     by_value
      - .offset:         64
        .size:           8
        .value_kind:     by_value
      - .offset:         72
        .size:           4
        .value_kind:     by_value
    .group_segment_fixed_size: 0
    .kernarg_segment_align: 8
    .kernarg_segment_size: 76
    .language:       OpenCL C
    .language_version:
      - 2
      - 0
    .max_flat_workgroup_size: 256
    .name:           _ZL22rocblas_saxpy_2_kernelILi256EDF16_PKDF16_PKS1_PKPDF16_EviT1_lT2_llT3_lli
    .private_segment_fixed_size: 0
    .sgpr_count:     20
    .sgpr_spill_count: 0
    .symbol:         _ZL22rocblas_saxpy_2_kernelILi256EDF16_PKDF16_PKS1_PKPDF16_EviT1_lT2_llT3_lli.kd
    .uniform_work_group_size: 1
    .uses_dynamic_stack: false
    .vgpr_count:     11
    .vgpr_spill_count: 0
    .wavefront_size: 64
  - .args:
      - .offset:         0
        .size:           4
        .value_kind:     by_value
      - .offset:         4
        .size:           2
        .value_kind:     by_value
      - .offset:         8
        .size:           8
        .value_kind:     by_value
      - .actual_access:  read_only
        .address_space:  global
        .offset:         16
        .size:           8
        .value_kind:     global_buffer
      - .offset:         24
        .size:           8
        .value_kind:     by_value
      - .offset:         32
        .size:           8
        .value_kind:     by_value
      - .actual_access:  read_only
        .address_space:  global
        .offset:         40
        .size:           8
        .value_kind:     global_buffer
      - .offset:         48
        .size:           8
        .value_kind:     by_value
      - .offset:         56
        .size:           8
        .value_kind:     by_value
      - .offset:         64
        .size:           4
        .value_kind:     by_value
    .group_segment_fixed_size: 0
    .kernarg_segment_align: 8
    .kernarg_segment_size: 68
    .language:       OpenCL C
    .language_version:
      - 2
      - 0
    .max_flat_workgroup_size: 256
    .name:           _ZL22rocblas_saxpy_2_kernelILi256EDF16_DF16_PKPKDF16_PKPDF16_EviT1_lT2_llT3_lli
    .private_segment_fixed_size: 0
    .sgpr_count:     20
    .sgpr_spill_count: 0
    .symbol:         _ZL22rocblas_saxpy_2_kernelILi256EDF16_DF16_PKPKDF16_PKPDF16_EviT1_lT2_llT3_lli.kd
    .uniform_work_group_size: 1
    .uses_dynamic_stack: false
    .vgpr_count:     10
    .vgpr_spill_count: 0
    .wavefront_size: 64
  - .args:
      - .offset:         0
        .size:           4
        .value_kind:     by_value
      - .address_space:  global
        .offset:         8
        .size:           8
        .value_kind:     global_buffer
      - .offset:         16
        .size:           8
        .value_kind:     by_value
      - .address_space:  global
        .offset:         24
        .size:           8
        .value_kind:     global_buffer
      - .offset:         32
        .size:           8
        .value_kind:     by_value
      - .offset:         40
        .size:           4
        .value_kind:     by_value
      - .offset:         48
        .size:           8
        .value_kind:     by_value
      - .address_space:  global
        .offset:         56
        .size:           8
        .value_kind:     global_buffer
      - .offset:         64
        .size:           8
        .value_kind:     by_value
      - .offset:         72
        .size:           4
        .value_kind:     by_value
      - .offset:         80
        .size:           8
        .value_kind:     by_value
      - .offset:         88
        .size:           4
        .value_kind:     by_value
    .group_segment_fixed_size: 0
    .kernarg_segment_align: 8
    .kernarg_segment_size: 92
    .language:       OpenCL C
    .language_version:
      - 2
      - 0
    .max_flat_workgroup_size: 1024
    .name:           _ZL27rocblas_axpy_kernel_batchedIiLi128ELi8EDF16_PKDF16_PKS1_PKPDF16_EviT3_lT4_lT_lT5_lS9_li
    .private_segment_fixed_size: 0
    .sgpr_count:     24
    .sgpr_spill_count: 0
    .symbol:         _ZL27rocblas_axpy_kernel_batchedIiLi128ELi8EDF16_PKDF16_PKS1_PKPDF16_EviT3_lT4_lT_lT5_lS9_li.kd
    .uniform_work_group_size: 1
    .uses_dynamic_stack: false
    .vgpr_count:     16
    .vgpr_spill_count: 0
    .wavefront_size: 64
  - .args:
      - .offset:         0
        .size:           4
        .value_kind:     by_value
      - .offset:         4
        .size:           2
        .value_kind:     by_value
      - .offset:         8
        .size:           8
        .value_kind:     by_value
      - .address_space:  global
        .offset:         16
        .size:           8
        .value_kind:     global_buffer
      - .offset:         24
        .size:           8
        .value_kind:     by_value
      - .offset:         32
        .size:           4
        .value_kind:     by_value
      - .offset:         40
        .size:           8
        .value_kind:     by_value
      - .address_space:  global
        .offset:         48
        .size:           8
        .value_kind:     global_buffer
      - .offset:         56
        .size:           8
        .value_kind:     by_value
      - .offset:         64
        .size:           4
        .value_kind:     by_value
      - .offset:         72
        .size:           8
        .value_kind:     by_value
      - .offset:         80
        .size:           4
        .value_kind:     by_value
    .group_segment_fixed_size: 0
    .kernarg_segment_align: 8
    .kernarg_segment_size: 84
    .language:       OpenCL C
    .language_version:
      - 2
      - 0
    .max_flat_workgroup_size: 1024
    .name:           _ZL27rocblas_axpy_kernel_batchedIiLi128ELi8EDF16_DF16_PKPKDF16_PKPDF16_EviT3_lT4_lT_lT5_lS9_li
    .private_segment_fixed_size: 0
    .sgpr_count:     22
    .sgpr_spill_count: 0
    .symbol:         _ZL27rocblas_axpy_kernel_batchedIiLi128ELi8EDF16_DF16_PKPKDF16_PKPDF16_EviT3_lT4_lT_lT5_lS9_li.kd
    .uniform_work_group_size: 1
    .uses_dynamic_stack: false
    .vgpr_count:     11
    .vgpr_spill_count: 0
    .wavefront_size: 64
  - .args:
      - .offset:         0
        .size:           4
        .value_kind:     by_value
      - .address_space:  global
        .offset:         8
        .size:           8
        .value_kind:     global_buffer
      - .offset:         16
        .size:           8
        .value_kind:     by_value
      - .actual_access:  read_only
        .address_space:  global
        .offset:         24
        .size:           8
        .value_kind:     global_buffer
      - .offset:         32
        .size:           8
        .value_kind:     by_value
      - .offset:         40
        .size:           4
        .value_kind:     by_value
      - .offset:         48
        .size:           8
        .value_kind:     by_value
      - .actual_access:  read_only
        .address_space:  global
        .offset:         56
        .size:           8
        .value_kind:     global_buffer
      - .offset:         64
        .size:           8
        .value_kind:     by_value
      - .offset:         72
        .size:           4
        .value_kind:     by_value
      - .offset:         80
        .size:           8
        .value_kind:     by_value
      - .offset:         88
        .size:           4
        .value_kind:     by_value
    .group_segment_fixed_size: 0
    .kernarg_segment_align: 8
    .kernarg_segment_size: 92
    .language:       OpenCL C
    .language_version:
      - 2
      - 0
    .max_flat_workgroup_size: 256
    .name:           _ZL19rocblas_axpy_kernelIiLi256EDF16_PKDF16_PKS1_PKPDF16_EviT2_lT3_lT_lT4_lS9_li
    .private_segment_fixed_size: 0
    .sgpr_count:     20
    .sgpr_spill_count: 0
    .symbol:         _ZL19rocblas_axpy_kernelIiLi256EDF16_PKDF16_PKS1_PKPDF16_EviT2_lT3_lT_lT4_lS9_li.kd
    .uniform_work_group_size: 1
    .uses_dynamic_stack: false
    .vgpr_count:     8
    .vgpr_spill_count: 0
    .wavefront_size: 64
  - .args:
      - .offset:         0
        .size:           4
        .value_kind:     by_value
      - .offset:         4
        .size:           2
        .value_kind:     by_value
      - .offset:         8
        .size:           8
        .value_kind:     by_value
      - .actual_access:  read_only
        .address_space:  global
        .offset:         16
        .size:           8
        .value_kind:     global_buffer
      - .offset:         24
        .size:           8
        .value_kind:     by_value
      - .offset:         32
        .size:           4
        .value_kind:     by_value
      - .offset:         40
        .size:           8
        .value_kind:     by_value
      - .actual_access:  read_only
        .address_space:  global
        .offset:         48
        .size:           8
        .value_kind:     global_buffer
      - .offset:         56
        .size:           8
        .value_kind:     by_value
      - .offset:         64
        .size:           4
        .value_kind:     by_value
      - .offset:         72
        .size:           8
        .value_kind:     by_value
      - .offset:         80
        .size:           4
        .value_kind:     by_value
    .group_segment_fixed_size: 0
    .kernarg_segment_align: 8
    .kernarg_segment_size: 84
    .language:       OpenCL C
    .language_version:
      - 2
      - 0
    .max_flat_workgroup_size: 256
    .name:           _ZL19rocblas_axpy_kernelIiLi256EDF16_DF16_PKPKDF16_PKPDF16_EviT2_lT3_lT_lT4_lS9_li
    .private_segment_fixed_size: 0
    .sgpr_count:     22
    .sgpr_spill_count: 0
    .symbol:         _ZL19rocblas_axpy_kernelIiLi256EDF16_DF16_PKPKDF16_PKPDF16_EviT2_lT3_lT_lT4_lS9_li.kd
    .uniform_work_group_size: 1
    .uses_dynamic_stack: false
    .vgpr_count:     7
    .vgpr_spill_count: 0
    .wavefront_size: 64
  - .args:
      - .offset:         0
        .size:           4
        .value_kind:     by_value
      - .address_space:  global
        .offset:         8
        .size:           8
        .value_kind:     global_buffer
      - .offset:         16
        .size:           8
        .value_kind:     by_value
      - .address_space:  global
        .offset:         24
        .size:           8
        .value_kind:     global_buffer
      - .offset:         32
        .size:           8
        .value_kind:     by_value
      - .offset:         40
        .size:           8
        .value_kind:     by_value
      - .address_space:  global
        .offset:         48
        .size:           8
        .value_kind:     global_buffer
      - .offset:         56
        .size:           8
        .value_kind:     by_value
      - .offset:         64
        .size:           8
        .value_kind:     by_value
      - .offset:         72
        .size:           4
        .value_kind:     by_value
    .group_segment_fixed_size: 0
    .kernarg_segment_align: 8
    .kernarg_segment_size: 76
    .language:       OpenCL C
    .language_version:
      - 2
      - 0
    .max_flat_workgroup_size: 256
    .name:           _ZL26rocblas_haxpy_mlt_8_kernelILi256EPKDF16_PKPKfPKPfEviT0_lT1_llT2_lli
    .private_segment_fixed_size: 0
    .sgpr_count:     20
    .sgpr_spill_count: 0
    .symbol:         _ZL26rocblas_haxpy_mlt_8_kernelILi256EPKDF16_PKPKfPKPfEviT0_lT1_llT2_lli.kd
    .uniform_work_group_size: 1
    .uses_dynamic_stack: false
    .vgpr_count:     13
    .vgpr_spill_count: 0
    .wavefront_size: 64
  - .args:
      - .offset:         0
        .size:           4
        .value_kind:     by_value
      - .address_space:  global
        .offset:         8
        .size:           8
        .value_kind:     global_buffer
      - .offset:         16
        .size:           8
        .value_kind:     by_value
      - .address_space:  global
        .offset:         24
        .size:           8
        .value_kind:     global_buffer
      - .offset:         32
        .size:           8
        .value_kind:     by_value
      - .offset:         40
        .size:           8
        .value_kind:     by_value
      - .address_space:  global
        .offset:         48
        .size:           8
        .value_kind:     global_buffer
      - .offset:         56
        .size:           8
        .value_kind:     by_value
      - .offset:         64
        .size:           8
        .value_kind:     by_value
      - .offset:         72
        .size:           4
        .value_kind:     by_value
    .group_segment_fixed_size: 0
    .kernarg_segment_align: 8
    .kernarg_segment_size: 76
    .language:       OpenCL C
    .language_version:
      - 2
      - 0
    .max_flat_workgroup_size: 256
    .name:           _ZL26rocblas_haxpy_mod_8_kernelILi256EPKfPKS1_PKPfEviT0_lT1_llT2_lli
    .private_segment_fixed_size: 0
    .sgpr_count:     22
    .sgpr_spill_count: 0
    .symbol:         _ZL26rocblas_haxpy_mod_8_kernelILi256EPKfPKS1_PKPfEviT0_lT1_llT2_lli.kd
    .uniform_work_group_size: 1
    .uses_dynamic_stack: false
    .vgpr_count:     6
    .vgpr_spill_count: 0
    .wavefront_size: 64
  - .args:
      - .offset:         0
        .size:           4
        .value_kind:     by_value
      - .offset:         4
        .size:           2
        .value_kind:     by_value
      - .offset:         8
        .size:           8
        .value_kind:     by_value
      - .address_space:  global
        .offset:         16
        .size:           8
        .value_kind:     global_buffer
      - .offset:         24
        .size:           8
        .value_kind:     by_value
      - .offset:         32
        .size:           8
        .value_kind:     by_value
      - .address_space:  global
        .offset:         40
        .size:           8
        .value_kind:     global_buffer
      - .offset:         48
        .size:           8
        .value_kind:     by_value
      - .offset:         56
        .size:           8
        .value_kind:     by_value
      - .offset:         64
        .size:           4
        .value_kind:     by_value
    .group_segment_fixed_size: 0
    .kernarg_segment_align: 8
    .kernarg_segment_size: 68
    .language:       OpenCL C
    .language_version:
      - 2
      - 0
    .max_flat_workgroup_size: 256
    .name:           _ZL26rocblas_haxpy_mlt_8_kernelILi256EDF16_PKPKfPKPfEviT0_lT1_llT2_lli
    .private_segment_fixed_size: 0
    .sgpr_count:     20
    .sgpr_spill_count: 0
    .symbol:         _ZL26rocblas_haxpy_mlt_8_kernelILi256EDF16_PKPKfPKPfEviT0_lT1_llT2_lli.kd
    .uniform_work_group_size: 1
    .uses_dynamic_stack: false
    .vgpr_count:     12
    .vgpr_spill_count: 0
    .wavefront_size: 64
  - .args:
      - .offset:         0
        .size:           4
        .value_kind:     by_value
      - .offset:         4
        .size:           4
        .value_kind:     by_value
      - .offset:         8
        .size:           8
        .value_kind:     by_value
      - .address_space:  global
        .offset:         16
        .size:           8
        .value_kind:     global_buffer
      - .offset:         24
        .size:           8
        .value_kind:     by_value
      - .offset:         32
        .size:           8
        .value_kind:     by_value
      - .address_space:  global
        .offset:         40
        .size:           8
        .value_kind:     global_buffer
      - .offset:         48
        .size:           8
        .value_kind:     by_value
      - .offset:         56
        .size:           8
        .value_kind:     by_value
      - .offset:         64
        .size:           4
        .value_kind:     by_value
    .group_segment_fixed_size: 0
    .kernarg_segment_align: 8
    .kernarg_segment_size: 68
    .language:       OpenCL C
    .language_version:
      - 2
      - 0
    .max_flat_workgroup_size: 256
    .name:           _ZL26rocblas_haxpy_mod_8_kernelILi256EfPKPKfPKPfEviT0_lT1_llT2_lli
    .private_segment_fixed_size: 0
    .sgpr_count:     20
    .sgpr_spill_count: 0
    .symbol:         _ZL26rocblas_haxpy_mod_8_kernelILi256EfPKPKfPKPfEviT0_lT1_llT2_lli.kd
    .uniform_work_group_size: 1
    .uses_dynamic_stack: false
    .vgpr_count:     6
    .vgpr_spill_count: 0
    .wavefront_size: 64
  - .args:
      - .offset:         0
        .size:           4
        .value_kind:     by_value
      - .address_space:  global
        .offset:         8
        .size:           8
        .value_kind:     global_buffer
      - .offset:         16
        .size:           8
        .value_kind:     by_value
      - .actual_access:  read_only
        .address_space:  global
        .offset:         24
        .size:           8
        .value_kind:     global_buffer
      - .offset:         32
        .size:           8
        .value_kind:     by_value
      - .offset:         40
        .size:           8
        .value_kind:     by_value
      - .actual_access:  read_only
        .address_space:  global
        .offset:         48
        .size:           8
        .value_kind:     global_buffer
      - .offset:         56
        .size:           8
        .value_kind:     by_value
      - .offset:         64
        .size:           8
        .value_kind:     by_value
      - .offset:         72
        .size:           4
        .value_kind:     by_value
    .group_segment_fixed_size: 0
    .kernarg_segment_align: 8
    .kernarg_segment_size: 76
    .language:       OpenCL C
    .language_version:
      - 2
      - 0
    .max_flat_workgroup_size: 256
    .name:           _ZL22rocblas_saxpy_2_kernelILi256EfPKfPKS1_PKPfEviT1_lT2_llT3_lli
    .private_segment_fixed_size: 0
    .sgpr_count:     22
    .sgpr_spill_count: 0
    .symbol:         _ZL22rocblas_saxpy_2_kernelILi256EfPKfPKS1_PKPfEviT1_lT2_llT3_lli.kd
    .uniform_work_group_size: 1
    .uses_dynamic_stack: false
    .vgpr_count:     11
    .vgpr_spill_count: 0
    .wavefront_size: 64
  - .args:
      - .offset:         0
        .size:           4
        .value_kind:     by_value
      - .offset:         4
        .size:           4
        .value_kind:     by_value
      - .offset:         8
        .size:           8
        .value_kind:     by_value
      - .actual_access:  read_only
        .address_space:  global
        .offset:         16
        .size:           8
        .value_kind:     global_buffer
      - .offset:         24
        .size:           8
        .value_kind:     by_value
      - .offset:         32
        .size:           8
        .value_kind:     by_value
      - .actual_access:  read_only
        .address_space:  global
        .offset:         40
        .size:           8
        .value_kind:     global_buffer
      - .offset:         48
        .size:           8
        .value_kind:     by_value
      - .offset:         56
        .size:           8
        .value_kind:     by_value
      - .offset:         64
        .size:           4
        .value_kind:     by_value
    .group_segment_fixed_size: 0
    .kernarg_segment_align: 8
    .kernarg_segment_size: 68
    .language:       OpenCL C
    .language_version:
      - 2
      - 0
    .max_flat_workgroup_size: 256
    .name:           _ZL22rocblas_saxpy_2_kernelILi256EffPKPKfPKPfEviT1_lT2_llT3_lli
    .private_segment_fixed_size: 0
    .sgpr_count:     20
    .sgpr_spill_count: 0
    .symbol:         _ZL22rocblas_saxpy_2_kernelILi256EffPKPKfPKPfEviT1_lT2_llT3_lli.kd
    .uniform_work_group_size: 1
    .uses_dynamic_stack: false
    .vgpr_count:     11
    .vgpr_spill_count: 0
    .wavefront_size: 64
  - .args:
      - .offset:         0
        .size:           4
        .value_kind:     by_value
      - .address_space:  global
        .offset:         8
        .size:           8
        .value_kind:     global_buffer
      - .offset:         16
        .size:           8
        .value_kind:     by_value
      - .address_space:  global
        .offset:         24
        .size:           8
        .value_kind:     global_buffer
      - .offset:         32
        .size:           8
        .value_kind:     by_value
      - .offset:         40
        .size:           4
        .value_kind:     by_value
      - .offset:         48
        .size:           8
        .value_kind:     by_value
      - .address_space:  global
        .offset:         56
        .size:           8
        .value_kind:     global_buffer
      - .offset:         64
        .size:           8
        .value_kind:     by_value
      - .offset:         72
        .size:           4
        .value_kind:     by_value
      - .offset:         80
        .size:           8
        .value_kind:     by_value
      - .offset:         88
        .size:           4
        .value_kind:     by_value
    .group_segment_fixed_size: 0
    .kernarg_segment_align: 8
    .kernarg_segment_size: 92
    .language:       OpenCL C
    .language_version:
      - 2
      - 0
    .max_flat_workgroup_size: 1024
    .name:           _ZL27rocblas_axpy_kernel_batchedIiLi128ELi8EfPKfPKS1_PKPfEviT3_lT4_lT_lT5_lS9_li
    .private_segment_fixed_size: 0
    .sgpr_count:     24
    .sgpr_spill_count: 0
    .symbol:         _ZL27rocblas_axpy_kernel_batchedIiLi128ELi8EfPKfPKS1_PKPfEviT3_lT4_lT_lT5_lS9_li.kd
    .uniform_work_group_size: 1
    .uses_dynamic_stack: false
    .vgpr_count:     16
    .vgpr_spill_count: 0
    .wavefront_size: 64
  - .args:
      - .offset:         0
        .size:           4
        .value_kind:     by_value
      - .offset:         4
        .size:           4
        .value_kind:     by_value
      - .offset:         8
        .size:           8
        .value_kind:     by_value
      - .address_space:  global
        .offset:         16
        .size:           8
        .value_kind:     global_buffer
      - .offset:         24
        .size:           8
        .value_kind:     by_value
      - .offset:         32
        .size:           4
        .value_kind:     by_value
      - .offset:         40
        .size:           8
        .value_kind:     by_value
      - .address_space:  global
        .offset:         48
        .size:           8
        .value_kind:     global_buffer
      - .offset:         56
        .size:           8
        .value_kind:     by_value
      - .offset:         64
        .size:           4
        .value_kind:     by_value
      - .offset:         72
        .size:           8
        .value_kind:     by_value
      - .offset:         80
        .size:           4
        .value_kind:     by_value
    .group_segment_fixed_size: 0
    .kernarg_segment_align: 8
    .kernarg_segment_size: 84
    .language:       OpenCL C
    .language_version:
      - 2
      - 0
    .max_flat_workgroup_size: 1024
    .name:           _ZL27rocblas_axpy_kernel_batchedIiLi128ELi8EffPKPKfPKPfEviT3_lT4_lT_lT5_lS9_li
    .private_segment_fixed_size: 0
    .sgpr_count:     22
    .sgpr_spill_count: 0
    .symbol:         _ZL27rocblas_axpy_kernel_batchedIiLi128ELi8EffPKPKfPKPfEviT3_lT4_lT_lT5_lS9_li.kd
    .uniform_work_group_size: 1
    .uses_dynamic_stack: false
    .vgpr_count:     11
    .vgpr_spill_count: 0
    .wavefront_size: 64
  - .args:
      - .offset:         0
        .size:           4
        .value_kind:     by_value
      - .address_space:  global
        .offset:         8
        .size:           8
        .value_kind:     global_buffer
      - .offset:         16
        .size:           8
        .value_kind:     by_value
      - .actual_access:  read_only
        .address_space:  global
        .offset:         24
        .size:           8
        .value_kind:     global_buffer
      - .offset:         32
        .size:           8
        .value_kind:     by_value
      - .offset:         40
        .size:           4
        .value_kind:     by_value
      - .offset:         48
        .size:           8
        .value_kind:     by_value
      - .actual_access:  read_only
        .address_space:  global
        .offset:         56
        .size:           8
        .value_kind:     global_buffer
      - .offset:         64
        .size:           8
        .value_kind:     by_value
      - .offset:         72
        .size:           4
        .value_kind:     by_value
      - .offset:         80
        .size:           8
        .value_kind:     by_value
      - .offset:         88
        .size:           4
        .value_kind:     by_value
    .group_segment_fixed_size: 0
    .kernarg_segment_align: 8
    .kernarg_segment_size: 92
    .language:       OpenCL C
    .language_version:
      - 2
      - 0
    .max_flat_workgroup_size: 256
    .name:           _ZL19rocblas_axpy_kernelIiLi256EfPKfPKS1_PKPfEviT2_lT3_lT_lT4_lS9_li
    .private_segment_fixed_size: 0
    .sgpr_count:     22
    .sgpr_spill_count: 0
    .symbol:         _ZL19rocblas_axpy_kernelIiLi256EfPKfPKS1_PKPfEviT2_lT3_lT_lT4_lS9_li.kd
    .uniform_work_group_size: 1
    .uses_dynamic_stack: false
    .vgpr_count:     7
    .vgpr_spill_count: 0
    .wavefront_size: 64
  - .args:
      - .offset:         0
        .size:           4
        .value_kind:     by_value
      - .offset:         4
        .size:           4
        .value_kind:     by_value
      - .offset:         8
        .size:           8
        .value_kind:     by_value
      - .actual_access:  read_only
        .address_space:  global
        .offset:         16
        .size:           8
        .value_kind:     global_buffer
      - .offset:         24
        .size:           8
        .value_kind:     by_value
      - .offset:         32
        .size:           4
        .value_kind:     by_value
      - .offset:         40
        .size:           8
        .value_kind:     by_value
      - .actual_access:  read_only
        .address_space:  global
        .offset:         48
        .size:           8
        .value_kind:     global_buffer
      - .offset:         56
        .size:           8
        .value_kind:     by_value
      - .offset:         64
        .size:           4
        .value_kind:     by_value
      - .offset:         72
        .size:           8
        .value_kind:     by_value
      - .offset:         80
        .size:           4
        .value_kind:     by_value
    .group_segment_fixed_size: 0
    .kernarg_segment_align: 8
    .kernarg_segment_size: 84
    .language:       OpenCL C
    .language_version:
      - 2
      - 0
    .max_flat_workgroup_size: 256
    .name:           _ZL19rocblas_axpy_kernelIiLi256EffPKPKfPKPfEviT2_lT3_lT_lT4_lS9_li
    .private_segment_fixed_size: 0
    .sgpr_count:     22
    .sgpr_spill_count: 0
    .symbol:         _ZL19rocblas_axpy_kernelIiLi256EffPKPKfPKPfEviT2_lT3_lT_lT4_lS9_li.kd
    .uniform_work_group_size: 1
    .uses_dynamic_stack: false
    .vgpr_count:     7
    .vgpr_spill_count: 0
    .wavefront_size: 64
  - .args:
      - .offset:         0
        .size:           4
        .value_kind:     by_value
      - .address_space:  global
        .offset:         8
        .size:           8
        .value_kind:     global_buffer
      - .offset:         16
        .size:           8
        .value_kind:     by_value
      - .address_space:  global
        .offset:         24
        .size:           8
        .value_kind:     global_buffer
      - .offset:         32
        .size:           8
        .value_kind:     by_value
      - .offset:         40
        .size:           8
        .value_kind:     by_value
      - .address_space:  global
        .offset:         48
        .size:           8
        .value_kind:     global_buffer
      - .offset:         56
        .size:           8
        .value_kind:     by_value
      - .offset:         64
        .size:           8
        .value_kind:     by_value
      - .offset:         72
        .size:           4
        .value_kind:     by_value
    .group_segment_fixed_size: 0
    .kernarg_segment_align: 8
    .kernarg_segment_size: 76
    .language:       OpenCL C
    .language_version:
      - 2
      - 0
    .max_flat_workgroup_size: 256
    .name:           _ZL26rocblas_haxpy_mlt_8_kernelILi256EPKDF16_PKPKdPKPdEviT0_lT1_llT2_lli
    .private_segment_fixed_size: 0
    .sgpr_count:     20
    .sgpr_spill_count: 0
    .symbol:         _ZL26rocblas_haxpy_mlt_8_kernelILi256EPKDF16_PKPKdPKPdEviT0_lT1_llT2_lli.kd
    .uniform_work_group_size: 1
    .uses_dynamic_stack: false
    .vgpr_count:     13
    .vgpr_spill_count: 0
    .wavefront_size: 64
  - .args:
      - .offset:         0
        .size:           4
        .value_kind:     by_value
      - .address_space:  global
        .offset:         8
        .size:           8
        .value_kind:     global_buffer
      - .offset:         16
        .size:           8
        .value_kind:     by_value
      - .address_space:  global
        .offset:         24
        .size:           8
        .value_kind:     global_buffer
      - .offset:         32
        .size:           8
        .value_kind:     by_value
      - .offset:         40
        .size:           8
        .value_kind:     by_value
      - .address_space:  global
        .offset:         48
        .size:           8
        .value_kind:     global_buffer
      - .offset:         56
        .size:           8
        .value_kind:     by_value
      - .offset:         64
        .size:           8
        .value_kind:     by_value
      - .offset:         72
        .size:           4
        .value_kind:     by_value
    .group_segment_fixed_size: 0
    .kernarg_segment_align: 8
    .kernarg_segment_size: 76
    .language:       OpenCL C
    .language_version:
      - 2
      - 0
    .max_flat_workgroup_size: 256
    .name:           _ZL26rocblas_haxpy_mod_8_kernelILi256EPKdPKS1_PKPdEviT0_lT1_llT2_lli
    .private_segment_fixed_size: 0
    .sgpr_count:     22
    .sgpr_spill_count: 0
    .symbol:         _ZL26rocblas_haxpy_mod_8_kernelILi256EPKdPKS1_PKPdEviT0_lT1_llT2_lli.kd
    .uniform_work_group_size: 1
    .uses_dynamic_stack: false
    .vgpr_count:     8
    .vgpr_spill_count: 0
    .wavefront_size: 64
  - .args:
      - .offset:         0
        .size:           4
        .value_kind:     by_value
      - .offset:         4
        .size:           2
        .value_kind:     by_value
      - .offset:         8
        .size:           8
        .value_kind:     by_value
      - .address_space:  global
        .offset:         16
        .size:           8
        .value_kind:     global_buffer
      - .offset:         24
        .size:           8
        .value_kind:     by_value
      - .offset:         32
        .size:           8
        .value_kind:     by_value
      - .address_space:  global
        .offset:         40
        .size:           8
        .value_kind:     global_buffer
      - .offset:         48
        .size:           8
        .value_kind:     by_value
      - .offset:         56
        .size:           8
        .value_kind:     by_value
      - .offset:         64
        .size:           4
        .value_kind:     by_value
    .group_segment_fixed_size: 0
    .kernarg_segment_align: 8
    .kernarg_segment_size: 68
    .language:       OpenCL C
    .language_version:
      - 2
      - 0
    .max_flat_workgroup_size: 256
    .name:           _ZL26rocblas_haxpy_mlt_8_kernelILi256EDF16_PKPKdPKPdEviT0_lT1_llT2_lli
    .private_segment_fixed_size: 0
    .sgpr_count:     20
    .sgpr_spill_count: 0
    .symbol:         _ZL26rocblas_haxpy_mlt_8_kernelILi256EDF16_PKPKdPKPdEviT0_lT1_llT2_lli.kd
    .uniform_work_group_size: 1
    .uses_dynamic_stack: false
    .vgpr_count:     12
    .vgpr_spill_count: 0
    .wavefront_size: 64
  - .args:
      - .offset:         0
        .size:           4
        .value_kind:     by_value
      - .offset:         8
        .size:           8
        .value_kind:     by_value
      - .offset:         16
        .size:           8
        .value_kind:     by_value
      - .address_space:  global
        .offset:         24
        .size:           8
        .value_kind:     global_buffer
      - .offset:         32
        .size:           8
        .value_kind:     by_value
      - .offset:         40
        .size:           8
        .value_kind:     by_value
      - .address_space:  global
        .offset:         48
        .size:           8
        .value_kind:     global_buffer
      - .offset:         56
        .size:           8
        .value_kind:     by_value
      - .offset:         64
        .size:           8
        .value_kind:     by_value
      - .offset:         72
        .size:           4
        .value_kind:     by_value
    .group_segment_fixed_size: 0
    .kernarg_segment_align: 8
    .kernarg_segment_size: 76
    .language:       OpenCL C
    .language_version:
      - 2
      - 0
    .max_flat_workgroup_size: 256
    .name:           _ZL26rocblas_haxpy_mod_8_kernelILi256EdPKPKdPKPdEviT0_lT1_llT2_lli
    .private_segment_fixed_size: 0
    .sgpr_count:     20
    .sgpr_spill_count: 0
    .symbol:         _ZL26rocblas_haxpy_mod_8_kernelILi256EdPKPKdPKPdEviT0_lT1_llT2_lli.kd
    .uniform_work_group_size: 1
    .uses_dynamic_stack: false
    .vgpr_count:     8
    .vgpr_spill_count: 0
    .wavefront_size: 64
  - .args:
      - .offset:         0
        .size:           4
        .value_kind:     by_value
      - .address_space:  global
        .offset:         8
        .size:           8
        .value_kind:     global_buffer
      - .offset:         16
        .size:           8
        .value_kind:     by_value
      - .actual_access:  read_only
        .address_space:  global
        .offset:         24
        .size:           8
        .value_kind:     global_buffer
      - .offset:         32
        .size:           8
        .value_kind:     by_value
      - .offset:         40
        .size:           8
        .value_kind:     by_value
      - .actual_access:  read_only
        .address_space:  global
        .offset:         48
        .size:           8
        .value_kind:     global_buffer
      - .offset:         56
        .size:           8
        .value_kind:     by_value
      - .offset:         64
        .size:           8
        .value_kind:     by_value
      - .offset:         72
        .size:           4
        .value_kind:     by_value
    .group_segment_fixed_size: 0
    .kernarg_segment_align: 8
    .kernarg_segment_size: 76
    .language:       OpenCL C
    .language_version:
      - 2
      - 0
    .max_flat_workgroup_size: 256
    .name:           _ZL22rocblas_saxpy_2_kernelILi256EdPKdPKS1_PKPdEviT1_lT2_llT3_lli
    .private_segment_fixed_size: 0
    .sgpr_count:     24
    .sgpr_spill_count: 0
    .symbol:         _ZL22rocblas_saxpy_2_kernelILi256EdPKdPKS1_PKPdEviT1_lT2_llT3_lli.kd
    .uniform_work_group_size: 1
    .uses_dynamic_stack: false
    .vgpr_count:     14
    .vgpr_spill_count: 0
    .wavefront_size: 64
  - .args:
      - .offset:         0
        .size:           4
        .value_kind:     by_value
      - .offset:         8
        .size:           8
        .value_kind:     by_value
      - .offset:         16
        .size:           8
        .value_kind:     by_value
      - .actual_access:  read_only
        .address_space:  global
        .offset:         24
        .size:           8
        .value_kind:     global_buffer
      - .offset:         32
        .size:           8
        .value_kind:     by_value
      - .offset:         40
        .size:           8
        .value_kind:     by_value
      - .actual_access:  read_only
        .address_space:  global
        .offset:         48
        .size:           8
        .value_kind:     global_buffer
      - .offset:         56
        .size:           8
        .value_kind:     by_value
      - .offset:         64
        .size:           8
        .value_kind:     by_value
      - .offset:         72
        .size:           4
        .value_kind:     by_value
    .group_segment_fixed_size: 0
    .kernarg_segment_align: 8
    .kernarg_segment_size: 76
    .language:       OpenCL C
    .language_version:
      - 2
      - 0
    .max_flat_workgroup_size: 256
    .name:           _ZL22rocblas_saxpy_2_kernelILi256EddPKPKdPKPdEviT1_lT2_llT3_lli
    .private_segment_fixed_size: 0
    .sgpr_count:     24
    .sgpr_spill_count: 0
    .symbol:         _ZL22rocblas_saxpy_2_kernelILi256EddPKPKdPKPdEviT1_lT2_llT3_lli.kd
    .uniform_work_group_size: 1
    .uses_dynamic_stack: false
    .vgpr_count:     14
    .vgpr_spill_count: 0
    .wavefront_size: 64
  - .args:
      - .offset:         0
        .size:           4
        .value_kind:     by_value
      - .address_space:  global
        .offset:         8
        .size:           8
        .value_kind:     global_buffer
      - .offset:         16
        .size:           8
        .value_kind:     by_value
      - .address_space:  global
        .offset:         24
        .size:           8
        .value_kind:     global_buffer
      - .offset:         32
        .size:           8
        .value_kind:     by_value
      - .offset:         40
        .size:           4
        .value_kind:     by_value
      - .offset:         48
        .size:           8
        .value_kind:     by_value
      - .address_space:  global
        .offset:         56
        .size:           8
        .value_kind:     global_buffer
      - .offset:         64
        .size:           8
        .value_kind:     by_value
      - .offset:         72
        .size:           4
        .value_kind:     by_value
      - .offset:         80
        .size:           8
        .value_kind:     by_value
      - .offset:         88
        .size:           4
        .value_kind:     by_value
    .group_segment_fixed_size: 0
    .kernarg_segment_align: 8
    .kernarg_segment_size: 92
    .language:       OpenCL C
    .language_version:
      - 2
      - 0
    .max_flat_workgroup_size: 1024
    .name:           _ZL27rocblas_axpy_kernel_batchedIiLi128ELi8EdPKdPKS1_PKPdEviT3_lT4_lT_lT5_lS9_li
    .private_segment_fixed_size: 0
    .sgpr_count:     24
    .sgpr_spill_count: 0
    .symbol:         _ZL27rocblas_axpy_kernel_batchedIiLi128ELi8EdPKdPKS1_PKPdEviT3_lT4_lT_lT5_lS9_li.kd
    .uniform_work_group_size: 1
    .uses_dynamic_stack: false
    .vgpr_count:     17
    .vgpr_spill_count: 0
    .wavefront_size: 64
  - .args:
      - .offset:         0
        .size:           4
        .value_kind:     by_value
      - .offset:         8
        .size:           8
        .value_kind:     by_value
      - .offset:         16
        .size:           8
        .value_kind:     by_value
      - .address_space:  global
        .offset:         24
        .size:           8
        .value_kind:     global_buffer
      - .offset:         32
        .size:           8
        .value_kind:     by_value
      - .offset:         40
        .size:           4
        .value_kind:     by_value
      - .offset:         48
        .size:           8
        .value_kind:     by_value
      - .address_space:  global
        .offset:         56
        .size:           8
        .value_kind:     global_buffer
      - .offset:         64
        .size:           8
        .value_kind:     by_value
      - .offset:         72
        .size:           4
        .value_kind:     by_value
      - .offset:         80
        .size:           8
        .value_kind:     by_value
      - .offset:         88
        .size:           4
        .value_kind:     by_value
    .group_segment_fixed_size: 0
    .kernarg_segment_align: 8
    .kernarg_segment_size: 92
    .language:       OpenCL C
    .language_version:
      - 2
      - 0
    .max_flat_workgroup_size: 1024
    .name:           _ZL27rocblas_axpy_kernel_batchedIiLi128ELi8EddPKPKdPKPdEviT3_lT4_lT_lT5_lS9_li
    .private_segment_fixed_size: 0
    .sgpr_count:     24
    .sgpr_spill_count: 0
    .symbol:         _ZL27rocblas_axpy_kernel_batchedIiLi128ELi8EddPKPKdPKPdEviT3_lT4_lT_lT5_lS9_li.kd
    .uniform_work_group_size: 1
    .uses_dynamic_stack: false
    .vgpr_count:     13
    .vgpr_spill_count: 0
    .wavefront_size: 64
  - .args:
      - .offset:         0
        .size:           4
        .value_kind:     by_value
      - .address_space:  global
        .offset:         8
        .size:           8
        .value_kind:     global_buffer
      - .offset:         16
        .size:           8
        .value_kind:     by_value
      - .actual_access:  read_only
        .address_space:  global
        .offset:         24
        .size:           8
        .value_kind:     global_buffer
      - .offset:         32
        .size:           8
        .value_kind:     by_value
      - .offset:         40
        .size:           4
        .value_kind:     by_value
      - .offset:         48
        .size:           8
        .value_kind:     by_value
      - .actual_access:  read_only
        .address_space:  global
        .offset:         56
        .size:           8
        .value_kind:     global_buffer
      - .offset:         64
        .size:           8
        .value_kind:     by_value
      - .offset:         72
        .size:           4
        .value_kind:     by_value
      - .offset:         80
        .size:           8
        .value_kind:     by_value
      - .offset:         88
        .size:           4
        .value_kind:     by_value
    .group_segment_fixed_size: 0
    .kernarg_segment_align: 8
    .kernarg_segment_size: 92
    .language:       OpenCL C
    .language_version:
      - 2
      - 0
    .max_flat_workgroup_size: 256
    .name:           _ZL19rocblas_axpy_kernelIiLi256EdPKdPKS1_PKPdEviT2_lT3_lT_lT4_lS9_li
    .private_segment_fixed_size: 0
    .sgpr_count:     22
    .sgpr_spill_count: 0
    .symbol:         _ZL19rocblas_axpy_kernelIiLi256EdPKdPKS1_PKPdEviT2_lT3_lT_lT4_lS9_li.kd
    .uniform_work_group_size: 1
    .uses_dynamic_stack: false
    .vgpr_count:     8
    .vgpr_spill_count: 0
    .wavefront_size: 64
  - .args:
      - .offset:         0
        .size:           4
        .value_kind:     by_value
      - .offset:         8
        .size:           8
        .value_kind:     by_value
      - .offset:         16
        .size:           8
        .value_kind:     by_value
      - .actual_access:  read_only
        .address_space:  global
        .offset:         24
        .size:           8
        .value_kind:     global_buffer
      - .offset:         32
        .size:           8
        .value_kind:     by_value
      - .offset:         40
        .size:           4
        .value_kind:     by_value
      - .offset:         48
        .size:           8
        .value_kind:     by_value
      - .actual_access:  read_only
        .address_space:  global
        .offset:         56
        .size:           8
        .value_kind:     global_buffer
      - .offset:         64
        .size:           8
        .value_kind:     by_value
      - .offset:         72
        .size:           4
        .value_kind:     by_value
      - .offset:         80
        .size:           8
        .value_kind:     by_value
      - .offset:         88
        .size:           4
        .value_kind:     by_value
    .group_segment_fixed_size: 0
    .kernarg_segment_align: 8
    .kernarg_segment_size: 92
    .language:       OpenCL C
    .language_version:
      - 2
      - 0
    .max_flat_workgroup_size: 256
    .name:           _ZL19rocblas_axpy_kernelIiLi256EddPKPKdPKPdEviT2_lT3_lT_lT4_lS9_li
    .private_segment_fixed_size: 0
    .sgpr_count:     22
    .sgpr_spill_count: 0
    .symbol:         _ZL19rocblas_axpy_kernelIiLi256EddPKPKdPKPdEviT2_lT3_lT_lT4_lS9_li.kd
    .uniform_work_group_size: 1
    .uses_dynamic_stack: false
    .vgpr_count:     8
    .vgpr_spill_count: 0
    .wavefront_size: 64
  - .args:
      - .offset:         0
        .size:           4
        .value_kind:     by_value
      - .address_space:  global
        .offset:         8
        .size:           8
        .value_kind:     global_buffer
      - .offset:         16
        .size:           8
        .value_kind:     by_value
      - .address_space:  global
        .offset:         24
        .size:           8
        .value_kind:     global_buffer
      - .offset:         32
        .size:           8
        .value_kind:     by_value
      - .offset:         40
        .size:           8
        .value_kind:     by_value
      - .address_space:  global
        .offset:         48
        .size:           8
        .value_kind:     global_buffer
      - .offset:         56
        .size:           8
        .value_kind:     by_value
      - .offset:         64
        .size:           8
        .value_kind:     by_value
      - .offset:         72
        .size:           4
        .value_kind:     by_value
    .group_segment_fixed_size: 0
    .kernarg_segment_align: 8
    .kernarg_segment_size: 76
    .language:       OpenCL C
    .language_version:
      - 2
      - 0
    .max_flat_workgroup_size: 256
    .name:           _ZL26rocblas_haxpy_mlt_8_kernelILi256EPKDF16_PKPK19rocblas_complex_numIfEPKPS3_EviT0_lT1_llT2_lli
    .private_segment_fixed_size: 0
    .sgpr_count:     20
    .sgpr_spill_count: 0
    .symbol:         _ZL26rocblas_haxpy_mlt_8_kernelILi256EPKDF16_PKPK19rocblas_complex_numIfEPKPS3_EviT0_lT1_llT2_lli.kd
    .uniform_work_group_size: 1
    .uses_dynamic_stack: false
    .vgpr_count:     13
    .vgpr_spill_count: 0
    .wavefront_size: 64
  - .args:
      - .offset:         0
        .size:           4
        .value_kind:     by_value
      - .address_space:  global
        .offset:         8
        .size:           8
        .value_kind:     global_buffer
      - .offset:         16
        .size:           8
        .value_kind:     by_value
      - .address_space:  global
        .offset:         24
        .size:           8
        .value_kind:     global_buffer
      - .offset:         32
        .size:           8
        .value_kind:     by_value
      - .offset:         40
        .size:           8
        .value_kind:     by_value
      - .address_space:  global
        .offset:         48
        .size:           8
        .value_kind:     global_buffer
      - .offset:         56
        .size:           8
        .value_kind:     by_value
      - .offset:         64
        .size:           8
        .value_kind:     by_value
      - .offset:         72
        .size:           4
        .value_kind:     by_value
    .group_segment_fixed_size: 0
    .kernarg_segment_align: 8
    .kernarg_segment_size: 76
    .language:       OpenCL C
    .language_version:
      - 2
      - 0
    .max_flat_workgroup_size: 256
    .name:           _ZL26rocblas_haxpy_mod_8_kernelILi256EPK19rocblas_complex_numIfEPKS3_PKPS1_EviT0_lT1_llT2_lli
    .private_segment_fixed_size: 0
    .sgpr_count:     22
    .sgpr_spill_count: 0
    .symbol:         _ZL26rocblas_haxpy_mod_8_kernelILi256EPK19rocblas_complex_numIfEPKS3_PKPS1_EviT0_lT1_llT2_lli.kd
    .uniform_work_group_size: 1
    .uses_dynamic_stack: false
    .vgpr_count:     7
    .vgpr_spill_count: 0
    .wavefront_size: 64
  - .args:
      - .offset:         0
        .size:           4
        .value_kind:     by_value
      - .offset:         4
        .size:           2
        .value_kind:     by_value
      - .offset:         8
        .size:           8
        .value_kind:     by_value
      - .address_space:  global
        .offset:         16
        .size:           8
        .value_kind:     global_buffer
      - .offset:         24
        .size:           8
        .value_kind:     by_value
      - .offset:         32
        .size:           8
        .value_kind:     by_value
      - .address_space:  global
        .offset:         40
        .size:           8
        .value_kind:     global_buffer
      - .offset:         48
        .size:           8
        .value_kind:     by_value
      - .offset:         56
        .size:           8
        .value_kind:     by_value
      - .offset:         64
        .size:           4
        .value_kind:     by_value
    .group_segment_fixed_size: 0
    .kernarg_segment_align: 8
    .kernarg_segment_size: 68
    .language:       OpenCL C
    .language_version:
      - 2
      - 0
    .max_flat_workgroup_size: 256
    .name:           _ZL26rocblas_haxpy_mlt_8_kernelILi256EDF16_PKPK19rocblas_complex_numIfEPKPS1_EviT0_lT1_llT2_lli
    .private_segment_fixed_size: 0
    .sgpr_count:     20
    .sgpr_spill_count: 0
    .symbol:         _ZL26rocblas_haxpy_mlt_8_kernelILi256EDF16_PKPK19rocblas_complex_numIfEPKPS1_EviT0_lT1_llT2_lli.kd
    .uniform_work_group_size: 1
    .uses_dynamic_stack: false
    .vgpr_count:     12
    .vgpr_spill_count: 0
    .wavefront_size: 64
  - .args:
      - .offset:         0
        .size:           4
        .value_kind:     by_value
      - .offset:         4
        .size:           8
        .value_kind:     by_value
      - .offset:         16
        .size:           8
        .value_kind:     by_value
      - .address_space:  global
        .offset:         24
        .size:           8
        .value_kind:     global_buffer
      - .offset:         32
        .size:           8
        .value_kind:     by_value
      - .offset:         40
        .size:           8
        .value_kind:     by_value
      - .address_space:  global
        .offset:         48
        .size:           8
        .value_kind:     global_buffer
      - .offset:         56
        .size:           8
        .value_kind:     by_value
      - .offset:         64
        .size:           8
        .value_kind:     by_value
      - .offset:         72
        .size:           4
        .value_kind:     by_value
    .group_segment_fixed_size: 0
    .kernarg_segment_align: 8
    .kernarg_segment_size: 76
    .language:       OpenCL C
    .language_version:
      - 2
      - 0
    .max_flat_workgroup_size: 256
    .name:           _ZL26rocblas_haxpy_mod_8_kernelILi256E19rocblas_complex_numIfEPKPKS1_PKPS1_EviT0_lT1_llT2_lli
    .private_segment_fixed_size: 0
    .sgpr_count:     24
    .sgpr_spill_count: 0
    .symbol:         _ZL26rocblas_haxpy_mod_8_kernelILi256E19rocblas_complex_numIfEPKPKS1_PKPS1_EviT0_lT1_llT2_lli.kd
    .uniform_work_group_size: 1
    .uses_dynamic_stack: false
    .vgpr_count:     7
    .vgpr_spill_count: 0
    .wavefront_size: 64
  - .args:
      - .offset:         0
        .size:           4
        .value_kind:     by_value
      - .address_space:  global
        .offset:         8
        .size:           8
        .value_kind:     global_buffer
      - .offset:         16
        .size:           8
        .value_kind:     by_value
      - .actual_access:  read_only
        .address_space:  global
        .offset:         24
        .size:           8
        .value_kind:     global_buffer
      - .offset:         32
        .size:           8
        .value_kind:     by_value
      - .offset:         40
        .size:           8
        .value_kind:     by_value
      - .actual_access:  read_only
        .address_space:  global
        .offset:         48
        .size:           8
        .value_kind:     global_buffer
      - .offset:         56
        .size:           8
        .value_kind:     by_value
      - .offset:         64
        .size:           8
        .value_kind:     by_value
      - .offset:         72
        .size:           4
        .value_kind:     by_value
    .group_segment_fixed_size: 0
    .kernarg_segment_align: 8
    .kernarg_segment_size: 76
    .language:       OpenCL C
    .language_version:
      - 2
      - 0
    .max_flat_workgroup_size: 256
    .name:           _ZL22rocblas_saxpy_2_kernelILi256E19rocblas_complex_numIfEPKS1_PKS3_PKPS1_EviT1_lT2_llT3_lli
    .private_segment_fixed_size: 0
    .sgpr_count:     24
    .sgpr_spill_count: 0
    .symbol:         _ZL22rocblas_saxpy_2_kernelILi256E19rocblas_complex_numIfEPKS1_PKS3_PKPS1_EviT1_lT2_llT3_lli.kd
    .uniform_work_group_size: 1
    .uses_dynamic_stack: false
    .vgpr_count:     15
    .vgpr_spill_count: 0
    .wavefront_size: 64
  - .args:
      - .offset:         0
        .size:           4
        .value_kind:     by_value
      - .offset:         4
        .size:           8
        .value_kind:     by_value
      - .offset:         16
        .size:           8
        .value_kind:     by_value
      - .actual_access:  read_only
        .address_space:  global
        .offset:         24
        .size:           8
        .value_kind:     global_buffer
      - .offset:         32
        .size:           8
        .value_kind:     by_value
      - .offset:         40
        .size:           8
        .value_kind:     by_value
      - .actual_access:  read_only
        .address_space:  global
        .offset:         48
        .size:           8
        .value_kind:     global_buffer
      - .offset:         56
        .size:           8
        .value_kind:     by_value
      - .offset:         64
        .size:           8
        .value_kind:     by_value
      - .offset:         72
        .size:           4
        .value_kind:     by_value
    .group_segment_fixed_size: 0
    .kernarg_segment_align: 8
    .kernarg_segment_size: 76
    .language:       OpenCL C
    .language_version:
      - 2
      - 0
    .max_flat_workgroup_size: 256
    .name:           _ZL22rocblas_saxpy_2_kernelILi256E19rocblas_complex_numIfES1_PKPKS1_PKPS1_EviT1_lT2_llT3_lli
    .private_segment_fixed_size: 0
    .sgpr_count:     24
    .sgpr_spill_count: 0
    .symbol:         _ZL22rocblas_saxpy_2_kernelILi256E19rocblas_complex_numIfES1_PKPKS1_PKPS1_EviT1_lT2_llT3_lli.kd
    .uniform_work_group_size: 1
    .uses_dynamic_stack: false
    .vgpr_count:     15
    .vgpr_spill_count: 0
    .wavefront_size: 64
  - .args:
      - .offset:         0
        .size:           4
        .value_kind:     by_value
      - .address_space:  global
        .offset:         8
        .size:           8
        .value_kind:     global_buffer
      - .offset:         16
        .size:           8
        .value_kind:     by_value
      - .address_space:  global
        .offset:         24
        .size:           8
        .value_kind:     global_buffer
      - .offset:         32
        .size:           8
        .value_kind:     by_value
      - .offset:         40
        .size:           4
        .value_kind:     by_value
      - .offset:         48
        .size:           8
        .value_kind:     by_value
      - .address_space:  global
        .offset:         56
        .size:           8
        .value_kind:     global_buffer
      - .offset:         64
        .size:           8
        .value_kind:     by_value
      - .offset:         72
        .size:           4
        .value_kind:     by_value
      - .offset:         80
        .size:           8
        .value_kind:     by_value
      - .offset:         88
        .size:           4
        .value_kind:     by_value
    .group_segment_fixed_size: 0
    .kernarg_segment_align: 8
    .kernarg_segment_size: 92
    .language:       OpenCL C
    .language_version:
      - 2
      - 0
    .max_flat_workgroup_size: 1024
    .name:           _ZL27rocblas_axpy_kernel_batchedIiLi128ELi8E19rocblas_complex_numIfEPKS1_PKS3_PKPS1_EviT3_lT4_lT_lT5_lSB_li
    .private_segment_fixed_size: 0
    .sgpr_count:     24
    .sgpr_spill_count: 0
    .symbol:         _ZL27rocblas_axpy_kernel_batchedIiLi128ELi8E19rocblas_complex_numIfEPKS1_PKS3_PKPS1_EviT3_lT4_lT_lT5_lSB_li.kd
    .uniform_work_group_size: 1
    .uses_dynamic_stack: false
    .vgpr_count:     17
    .vgpr_spill_count: 0
    .wavefront_size: 64
  - .args:
      - .offset:         0
        .size:           4
        .value_kind:     by_value
      - .offset:         4
        .size:           8
        .value_kind:     by_value
      - .offset:         16
        .size:           8
        .value_kind:     by_value
      - .address_space:  global
        .offset:         24
        .size:           8
        .value_kind:     global_buffer
      - .offset:         32
        .size:           8
        .value_kind:     by_value
      - .offset:         40
        .size:           4
        .value_kind:     by_value
      - .offset:         48
        .size:           8
        .value_kind:     by_value
      - .address_space:  global
        .offset:         56
        .size:           8
        .value_kind:     global_buffer
      - .offset:         64
        .size:           8
        .value_kind:     by_value
      - .offset:         72
        .size:           4
        .value_kind:     by_value
      - .offset:         80
        .size:           8
        .value_kind:     by_value
      - .offset:         88
        .size:           4
        .value_kind:     by_value
    .group_segment_fixed_size: 0
    .kernarg_segment_align: 8
    .kernarg_segment_size: 92
    .language:       OpenCL C
    .language_version:
      - 2
      - 0
    .max_flat_workgroup_size: 1024
    .name:           _ZL27rocblas_axpy_kernel_batchedIiLi128ELi8E19rocblas_complex_numIfES1_PKPKS1_PKPS1_EviT3_lT4_lT_lT5_lSB_li
    .private_segment_fixed_size: 0
    .sgpr_count:     24
    .sgpr_spill_count: 0
    .symbol:         _ZL27rocblas_axpy_kernel_batchedIiLi128ELi8E19rocblas_complex_numIfES1_PKPKS1_PKPS1_EviT3_lT4_lT_lT5_lSB_li.kd
    .uniform_work_group_size: 1
    .uses_dynamic_stack: false
    .vgpr_count:     12
    .vgpr_spill_count: 0
    .wavefront_size: 64
  - .args:
      - .offset:         0
        .size:           4
        .value_kind:     by_value
      - .address_space:  global
        .offset:         8
        .size:           8
        .value_kind:     global_buffer
      - .offset:         16
        .size:           8
        .value_kind:     by_value
      - .actual_access:  read_only
        .address_space:  global
        .offset:         24
        .size:           8
        .value_kind:     global_buffer
      - .offset:         32
        .size:           8
        .value_kind:     by_value
      - .offset:         40
        .size:           4
        .value_kind:     by_value
      - .offset:         48
        .size:           8
        .value_kind:     by_value
      - .actual_access:  read_only
        .address_space:  global
        .offset:         56
        .size:           8
        .value_kind:     global_buffer
      - .offset:         64
        .size:           8
        .value_kind:     by_value
      - .offset:         72
        .size:           4
        .value_kind:     by_value
      - .offset:         80
        .size:           8
        .value_kind:     by_value
      - .offset:         88
        .size:           4
        .value_kind:     by_value
    .group_segment_fixed_size: 0
    .kernarg_segment_align: 8
    .kernarg_segment_size: 92
    .language:       OpenCL C
    .language_version:
      - 2
      - 0
    .max_flat_workgroup_size: 256
    .name:           _ZL19rocblas_axpy_kernelIiLi256E19rocblas_complex_numIfEPKS1_PKS3_PKPS1_EviT2_lT3_lT_lT4_lSB_li
    .private_segment_fixed_size: 0
    .sgpr_count:     22
    .sgpr_spill_count: 0
    .symbol:         _ZL19rocblas_axpy_kernelIiLi256E19rocblas_complex_numIfEPKS1_PKS3_PKPS1_EviT2_lT3_lT_lT4_lSB_li.kd
    .uniform_work_group_size: 1
    .uses_dynamic_stack: false
    .vgpr_count:     7
    .vgpr_spill_count: 0
    .wavefront_size: 64
  - .args:
      - .offset:         0
        .size:           4
        .value_kind:     by_value
      - .offset:         4
        .size:           8
        .value_kind:     by_value
      - .offset:         16
        .size:           8
        .value_kind:     by_value
      - .actual_access:  read_only
        .address_space:  global
        .offset:         24
        .size:           8
        .value_kind:     global_buffer
      - .offset:         32
        .size:           8
        .value_kind:     by_value
      - .offset:         40
        .size:           4
        .value_kind:     by_value
      - .offset:         48
        .size:           8
        .value_kind:     by_value
      - .actual_access:  read_only
        .address_space:  global
        .offset:         56
        .size:           8
        .value_kind:     global_buffer
      - .offset:         64
        .size:           8
        .value_kind:     by_value
      - .offset:         72
        .size:           4
        .value_kind:     by_value
      - .offset:         80
        .size:           8
        .value_kind:     by_value
      - .offset:         88
        .size:           4
        .value_kind:     by_value
    .group_segment_fixed_size: 0
    .kernarg_segment_align: 8
    .kernarg_segment_size: 92
    .language:       OpenCL C
    .language_version:
      - 2
      - 0
    .max_flat_workgroup_size: 256
    .name:           _ZL19rocblas_axpy_kernelIiLi256E19rocblas_complex_numIfES1_PKPKS1_PKPS1_EviT2_lT3_lT_lT4_lSB_li
    .private_segment_fixed_size: 0
    .sgpr_count:     23
    .sgpr_spill_count: 0
    .symbol:         _ZL19rocblas_axpy_kernelIiLi256E19rocblas_complex_numIfES1_PKPKS1_PKPS1_EviT2_lT3_lT_lT4_lSB_li.kd
    .uniform_work_group_size: 1
    .uses_dynamic_stack: false
    .vgpr_count:     7
    .vgpr_spill_count: 0
    .wavefront_size: 64
  - .args:
      - .offset:         0
        .size:           4
        .value_kind:     by_value
      - .address_space:  global
        .offset:         8
        .size:           8
        .value_kind:     global_buffer
      - .offset:         16
        .size:           8
        .value_kind:     by_value
      - .address_space:  global
        .offset:         24
        .size:           8
        .value_kind:     global_buffer
      - .offset:         32
        .size:           8
        .value_kind:     by_value
      - .offset:         40
        .size:           8
        .value_kind:     by_value
      - .address_space:  global
        .offset:         48
        .size:           8
        .value_kind:     global_buffer
      - .offset:         56
        .size:           8
        .value_kind:     by_value
      - .offset:         64
        .size:           8
        .value_kind:     by_value
      - .offset:         72
        .size:           4
        .value_kind:     by_value
    .group_segment_fixed_size: 0
    .kernarg_segment_align: 8
    .kernarg_segment_size: 76
    .language:       OpenCL C
    .language_version:
      - 2
      - 0
    .max_flat_workgroup_size: 256
    .name:           _ZL26rocblas_haxpy_mlt_8_kernelILi256EPKDF16_PKPK19rocblas_complex_numIdEPKPS3_EviT0_lT1_llT2_lli
    .private_segment_fixed_size: 0
    .sgpr_count:     20
    .sgpr_spill_count: 0
    .symbol:         _ZL26rocblas_haxpy_mlt_8_kernelILi256EPKDF16_PKPK19rocblas_complex_numIdEPKPS3_EviT0_lT1_llT2_lli.kd
    .uniform_work_group_size: 1
    .uses_dynamic_stack: false
    .vgpr_count:     13
    .vgpr_spill_count: 0
    .wavefront_size: 64
  - .args:
      - .offset:         0
        .size:           4
        .value_kind:     by_value
      - .address_space:  global
        .offset:         8
        .size:           8
        .value_kind:     global_buffer
      - .offset:         16
        .size:           8
        .value_kind:     by_value
      - .address_space:  global
        .offset:         24
        .size:           8
        .value_kind:     global_buffer
      - .offset:         32
        .size:           8
        .value_kind:     by_value
      - .offset:         40
        .size:           8
        .value_kind:     by_value
      - .address_space:  global
        .offset:         48
        .size:           8
        .value_kind:     global_buffer
      - .offset:         56
        .size:           8
        .value_kind:     by_value
      - .offset:         64
        .size:           8
        .value_kind:     by_value
      - .offset:         72
        .size:           4
        .value_kind:     by_value
    .group_segment_fixed_size: 0
    .kernarg_segment_align: 8
    .kernarg_segment_size: 76
    .language:       OpenCL C
    .language_version:
      - 2
      - 0
    .max_flat_workgroup_size: 256
    .name:           _ZL26rocblas_haxpy_mod_8_kernelILi256EPK19rocblas_complex_numIdEPKS3_PKPS1_EviT0_lT1_llT2_lli
    .private_segment_fixed_size: 0
    .sgpr_count:     24
    .sgpr_spill_count: 0
    .symbol:         _ZL26rocblas_haxpy_mod_8_kernelILi256EPK19rocblas_complex_numIdEPKS3_PKPS1_EviT0_lT1_llT2_lli.kd
    .uniform_work_group_size: 1
    .uses_dynamic_stack: false
    .vgpr_count:     12
    .vgpr_spill_count: 0
    .wavefront_size: 64
  - .args:
      - .offset:         0
        .size:           4
        .value_kind:     by_value
      - .offset:         4
        .size:           2
        .value_kind:     by_value
      - .offset:         8
        .size:           8
        .value_kind:     by_value
      - .address_space:  global
        .offset:         16
        .size:           8
        .value_kind:     global_buffer
      - .offset:         24
        .size:           8
        .value_kind:     by_value
      - .offset:         32
        .size:           8
        .value_kind:     by_value
      - .address_space:  global
        .offset:         40
        .size:           8
        .value_kind:     global_buffer
      - .offset:         48
        .size:           8
        .value_kind:     by_value
      - .offset:         56
        .size:           8
        .value_kind:     by_value
      - .offset:         64
        .size:           4
        .value_kind:     by_value
    .group_segment_fixed_size: 0
    .kernarg_segment_align: 8
    .kernarg_segment_size: 68
    .language:       OpenCL C
    .language_version:
      - 2
      - 0
    .max_flat_workgroup_size: 256
    .name:           _ZL26rocblas_haxpy_mlt_8_kernelILi256EDF16_PKPK19rocblas_complex_numIdEPKPS1_EviT0_lT1_llT2_lli
    .private_segment_fixed_size: 0
    .sgpr_count:     20
    .sgpr_spill_count: 0
    .symbol:         _ZL26rocblas_haxpy_mlt_8_kernelILi256EDF16_PKPK19rocblas_complex_numIdEPKPS1_EviT0_lT1_llT2_lli.kd
    .uniform_work_group_size: 1
    .uses_dynamic_stack: false
    .vgpr_count:     12
    .vgpr_spill_count: 0
    .wavefront_size: 64
  - .args:
      - .offset:         0
        .size:           4
        .value_kind:     by_value
      - .offset:         8
        .size:           16
        .value_kind:     by_value
      - .offset:         24
        .size:           8
        .value_kind:     by_value
      - .address_space:  global
        .offset:         32
        .size:           8
        .value_kind:     global_buffer
      - .offset:         40
        .size:           8
        .value_kind:     by_value
      - .offset:         48
        .size:           8
        .value_kind:     by_value
      - .address_space:  global
        .offset:         56
        .size:           8
        .value_kind:     global_buffer
      - .offset:         64
        .size:           8
        .value_kind:     by_value
      - .offset:         72
        .size:           8
        .value_kind:     by_value
      - .offset:         80
        .size:           4
        .value_kind:     by_value
    .group_segment_fixed_size: 0
    .kernarg_segment_align: 8
    .kernarg_segment_size: 84
    .language:       OpenCL C
    .language_version:
      - 2
      - 0
    .max_flat_workgroup_size: 256
    .name:           _ZL26rocblas_haxpy_mod_8_kernelILi256E19rocblas_complex_numIdEPKPKS1_PKPS1_EviT0_lT1_llT2_lli
    .private_segment_fixed_size: 0
    .sgpr_count:     24
    .sgpr_spill_count: 0
    .symbol:         _ZL26rocblas_haxpy_mod_8_kernelILi256E19rocblas_complex_numIdEPKPKS1_PKPS1_EviT0_lT1_llT2_lli.kd
    .uniform_work_group_size: 1
    .uses_dynamic_stack: false
    .vgpr_count:     12
    .vgpr_spill_count: 0
    .wavefront_size: 64
  - .args:
      - .offset:         0
        .size:           4
        .value_kind:     by_value
      - .address_space:  global
        .offset:         8
        .size:           8
        .value_kind:     global_buffer
      - .offset:         16
        .size:           8
        .value_kind:     by_value
      - .actual_access:  read_only
        .address_space:  global
        .offset:         24
        .size:           8
        .value_kind:     global_buffer
      - .offset:         32
        .size:           8
        .value_kind:     by_value
      - .offset:         40
        .size:           8
        .value_kind:     by_value
      - .actual_access:  read_only
        .address_space:  global
        .offset:         48
        .size:           8
        .value_kind:     global_buffer
      - .offset:         56
        .size:           8
        .value_kind:     by_value
      - .offset:         64
        .size:           8
        .value_kind:     by_value
      - .offset:         72
        .size:           4
        .value_kind:     by_value
    .group_segment_fixed_size: 0
    .kernarg_segment_align: 8
    .kernarg_segment_size: 76
    .language:       OpenCL C
    .language_version:
      - 2
      - 0
    .max_flat_workgroup_size: 256
    .name:           _ZL22rocblas_saxpy_2_kernelILi256E19rocblas_complex_numIdEPKS1_PKS3_PKPS1_EviT1_lT2_llT3_lli
    .private_segment_fixed_size: 0
    .sgpr_count:     26
    .sgpr_spill_count: 0
    .symbol:         _ZL22rocblas_saxpy_2_kernelILi256E19rocblas_complex_numIdEPKS1_PKS3_PKPS1_EviT1_lT2_llT3_lli.kd
    .uniform_work_group_size: 1
    .uses_dynamic_stack: false
    .vgpr_count:     20
    .vgpr_spill_count: 0
    .wavefront_size: 64
  - .args:
      - .offset:         0
        .size:           4
        .value_kind:     by_value
      - .offset:         8
        .size:           16
        .value_kind:     by_value
      - .offset:         24
        .size:           8
        .value_kind:     by_value
      - .actual_access:  read_only
        .address_space:  global
        .offset:         32
        .size:           8
        .value_kind:     global_buffer
      - .offset:         40
        .size:           8
        .value_kind:     by_value
      - .offset:         48
        .size:           8
        .value_kind:     by_value
      - .actual_access:  read_only
        .address_space:  global
        .offset:         56
        .size:           8
        .value_kind:     global_buffer
      - .offset:         64
        .size:           8
        .value_kind:     by_value
      - .offset:         72
        .size:           8
        .value_kind:     by_value
      - .offset:         80
        .size:           4
        .value_kind:     by_value
    .group_segment_fixed_size: 0
    .kernarg_segment_align: 8
    .kernarg_segment_size: 84
    .language:       OpenCL C
    .language_version:
      - 2
      - 0
    .max_flat_workgroup_size: 256
    .name:           _ZL22rocblas_saxpy_2_kernelILi256E19rocblas_complex_numIdES1_PKPKS1_PKPS1_EviT1_lT2_llT3_lli
    .private_segment_fixed_size: 0
    .sgpr_count:     26
    .sgpr_spill_count: 0
    .symbol:         _ZL22rocblas_saxpy_2_kernelILi256E19rocblas_complex_numIdES1_PKPKS1_PKPS1_EviT1_lT2_llT3_lli.kd
    .uniform_work_group_size: 1
    .uses_dynamic_stack: false
    .vgpr_count:     20
    .vgpr_spill_count: 0
    .wavefront_size: 64
  - .args:
      - .offset:         0
        .size:           4
        .value_kind:     by_value
      - .address_space:  global
        .offset:         8
        .size:           8
        .value_kind:     global_buffer
      - .offset:         16
        .size:           8
        .value_kind:     by_value
      - .address_space:  global
        .offset:         24
        .size:           8
        .value_kind:     global_buffer
      - .offset:         32
        .size:           8
        .value_kind:     by_value
      - .offset:         40
        .size:           4
        .value_kind:     by_value
      - .offset:         48
        .size:           8
        .value_kind:     by_value
      - .address_space:  global
        .offset:         56
        .size:           8
        .value_kind:     global_buffer
      - .offset:         64
        .size:           8
        .value_kind:     by_value
      - .offset:         72
        .size:           4
        .value_kind:     by_value
      - .offset:         80
        .size:           8
        .value_kind:     by_value
      - .offset:         88
        .size:           4
        .value_kind:     by_value
    .group_segment_fixed_size: 0
    .kernarg_segment_align: 8
    .kernarg_segment_size: 92
    .language:       OpenCL C
    .language_version:
      - 2
      - 0
    .max_flat_workgroup_size: 1024
    .name:           _ZL27rocblas_axpy_kernel_batchedIiLi128ELi8E19rocblas_complex_numIdEPKS1_PKS3_PKPS1_EviT3_lT4_lT_lT5_lSB_li
    .private_segment_fixed_size: 0
    .sgpr_count:     24
    .sgpr_spill_count: 0
    .symbol:         _ZL27rocblas_axpy_kernel_batchedIiLi128ELi8E19rocblas_complex_numIdEPKS1_PKS3_PKPS1_EviT3_lT4_lT_lT5_lSB_li.kd
    .uniform_work_group_size: 1
    .uses_dynamic_stack: false
    .vgpr_count:     18
    .vgpr_spill_count: 0
    .wavefront_size: 64
  - .args:
      - .offset:         0
        .size:           4
        .value_kind:     by_value
      - .offset:         8
        .size:           16
        .value_kind:     by_value
      - .offset:         24
        .size:           8
        .value_kind:     by_value
      - .address_space:  global
        .offset:         32
        .size:           8
        .value_kind:     global_buffer
      - .offset:         40
        .size:           8
        .value_kind:     by_value
      - .offset:         48
        .size:           4
        .value_kind:     by_value
      - .offset:         56
        .size:           8
        .value_kind:     by_value
      - .address_space:  global
        .offset:         64
        .size:           8
        .value_kind:     global_buffer
      - .offset:         72
        .size:           8
        .value_kind:     by_value
      - .offset:         80
        .size:           4
        .value_kind:     by_value
      - .offset:         88
        .size:           8
        .value_kind:     by_value
      - .offset:         96
        .size:           4
        .value_kind:     by_value
    .group_segment_fixed_size: 0
    .kernarg_segment_align: 8
    .kernarg_segment_size: 100
    .language:       OpenCL C
    .language_version:
      - 2
      - 0
    .max_flat_workgroup_size: 1024
    .name:           _ZL27rocblas_axpy_kernel_batchedIiLi128ELi8E19rocblas_complex_numIdES1_PKPKS1_PKPS1_EviT3_lT4_lT_lT5_lSB_li
    .private_segment_fixed_size: 0
    .sgpr_count:     26
    .sgpr_spill_count: 0
    .symbol:         _ZL27rocblas_axpy_kernel_batchedIiLi128ELi8E19rocblas_complex_numIdES1_PKPKS1_PKPS1_EviT3_lT4_lT_lT5_lSB_li.kd
    .uniform_work_group_size: 1
    .uses_dynamic_stack: false
    .vgpr_count:     17
    .vgpr_spill_count: 0
    .wavefront_size: 64
  - .args:
      - .offset:         0
        .size:           4
        .value_kind:     by_value
      - .address_space:  global
        .offset:         8
        .size:           8
        .value_kind:     global_buffer
      - .offset:         16
        .size:           8
        .value_kind:     by_value
      - .actual_access:  read_only
        .address_space:  global
        .offset:         24
        .size:           8
        .value_kind:     global_buffer
      - .offset:         32
        .size:           8
        .value_kind:     by_value
      - .offset:         40
        .size:           4
        .value_kind:     by_value
      - .offset:         48
        .size:           8
        .value_kind:     by_value
      - .actual_access:  read_only
        .address_space:  global
        .offset:         56
        .size:           8
        .value_kind:     global_buffer
      - .offset:         64
        .size:           8
        .value_kind:     by_value
      - .offset:         72
        .size:           4
        .value_kind:     by_value
      - .offset:         80
        .size:           8
        .value_kind:     by_value
      - .offset:         88
        .size:           4
        .value_kind:     by_value
    .group_segment_fixed_size: 0
    .kernarg_segment_align: 8
    .kernarg_segment_size: 92
    .language:       OpenCL C
    .language_version:
      - 2
      - 0
    .max_flat_workgroup_size: 256
    .name:           _ZL19rocblas_axpy_kernelIiLi256E19rocblas_complex_numIdEPKS1_PKS3_PKPS1_EviT2_lT3_lT_lT4_lSB_li
    .private_segment_fixed_size: 0
    .sgpr_count:     24
    .sgpr_spill_count: 0
    .symbol:         _ZL19rocblas_axpy_kernelIiLi256E19rocblas_complex_numIdEPKS1_PKS3_PKPS1_EviT2_lT3_lT_lT4_lSB_li.kd
    .uniform_work_group_size: 1
    .uses_dynamic_stack: false
    .vgpr_count:     12
    .vgpr_spill_count: 0
    .wavefront_size: 64
  - .args:
      - .offset:         0
        .size:           4
        .value_kind:     by_value
      - .offset:         8
        .size:           16
        .value_kind:     by_value
      - .offset:         24
        .size:           8
        .value_kind:     by_value
      - .actual_access:  read_only
        .address_space:  global
        .offset:         32
        .size:           8
        .value_kind:     global_buffer
      - .offset:         40
        .size:           8
        .value_kind:     by_value
      - .offset:         48
        .size:           4
        .value_kind:     by_value
      - .offset:         56
        .size:           8
        .value_kind:     by_value
      - .actual_access:  read_only
        .address_space:  global
        .offset:         64
        .size:           8
        .value_kind:     global_buffer
      - .offset:         72
        .size:           8
        .value_kind:     by_value
      - .offset:         80
        .size:           4
        .value_kind:     by_value
      - .offset:         88
        .size:           8
        .value_kind:     by_value
      - .offset:         96
        .size:           4
        .value_kind:     by_value
    .group_segment_fixed_size: 0
    .kernarg_segment_align: 8
    .kernarg_segment_size: 100
    .language:       OpenCL C
    .language_version:
      - 2
      - 0
    .max_flat_workgroup_size: 256
    .name:           _ZL19rocblas_axpy_kernelIiLi256E19rocblas_complex_numIdES1_PKPKS1_PKPS1_EviT2_lT3_lT_lT4_lSB_li
    .private_segment_fixed_size: 0
    .sgpr_count:     24
    .sgpr_spill_count: 0
    .symbol:         _ZL19rocblas_axpy_kernelIiLi256E19rocblas_complex_numIdES1_PKPKS1_PKPS1_EviT2_lT3_lT_lT4_lSB_li.kd
    .uniform_work_group_size: 1
    .uses_dynamic_stack: false
    .vgpr_count:     12
    .vgpr_spill_count: 0
    .wavefront_size: 64
  - .args:
      - .offset:         0
        .size:           4
        .value_kind:     by_value
      - .address_space:  global
        .offset:         8
        .size:           8
        .value_kind:     global_buffer
      - .offset:         16
        .size:           8
        .value_kind:     by_value
      - .address_space:  global
        .offset:         24
        .size:           8
        .value_kind:     global_buffer
      - .offset:         32
        .size:           8
        .value_kind:     by_value
      - .offset:         40
        .size:           8
        .value_kind:     by_value
      - .address_space:  global
        .offset:         48
        .size:           8
        .value_kind:     global_buffer
      - .offset:         56
        .size:           8
        .value_kind:     by_value
      - .offset:         64
        .size:           8
        .value_kind:     by_value
      - .offset:         72
        .size:           4
        .value_kind:     by_value
    .group_segment_fixed_size: 0
    .kernarg_segment_align: 8
    .kernarg_segment_size: 76
    .language:       OpenCL C
    .language_version:
      - 2
      - 0
    .max_flat_workgroup_size: 256
    .name:           _ZL26rocblas_haxpy_mlt_8_kernelILi256EPKDF16_PK16rocblas_bfloat16PS2_EviT0_lT1_llT2_lli
    .private_segment_fixed_size: 0
    .sgpr_count:     28
    .sgpr_spill_count: 0
    .symbol:         _ZL26rocblas_haxpy_mlt_8_kernelILi256EPKDF16_PK16rocblas_bfloat16PS2_EviT0_lT1_llT2_lli.kd
    .uniform_work_group_size: 1
    .uses_dynamic_stack: false
    .vgpr_count:     13
    .vgpr_spill_count: 0
    .wavefront_size: 64
  - .args:
      - .offset:         0
        .size:           4
        .value_kind:     by_value
      - .address_space:  global
        .offset:         8
        .size:           8
        .value_kind:     global_buffer
      - .offset:         16
        .size:           8
        .value_kind:     by_value
      - .address_space:  global
        .offset:         24
        .size:           8
        .value_kind:     global_buffer
      - .offset:         32
        .size:           8
        .value_kind:     by_value
      - .offset:         40
        .size:           8
        .value_kind:     by_value
      - .address_space:  global
        .offset:         48
        .size:           8
        .value_kind:     global_buffer
      - .offset:         56
        .size:           8
        .value_kind:     by_value
      - .offset:         64
        .size:           8
        .value_kind:     by_value
      - .offset:         72
        .size:           4
        .value_kind:     by_value
    .group_segment_fixed_size: 0
    .kernarg_segment_align: 8
    .kernarg_segment_size: 76
    .language:       OpenCL C
    .language_version:
      - 2
      - 0
    .max_flat_workgroup_size: 256
    .name:           _ZL26rocblas_haxpy_mod_8_kernelILi256EPK16rocblas_bfloat16S2_PS0_EviT0_lT1_llT2_lli
    .private_segment_fixed_size: 0
    .sgpr_count:     28
    .sgpr_spill_count: 0
    .symbol:         _ZL26rocblas_haxpy_mod_8_kernelILi256EPK16rocblas_bfloat16S2_PS0_EviT0_lT1_llT2_lli.kd
    .uniform_work_group_size: 1
    .uses_dynamic_stack: false
    .vgpr_count:     5
    .vgpr_spill_count: 0
    .wavefront_size: 64
  - .args:
      - .offset:         0
        .size:           4
        .value_kind:     by_value
      - .offset:         4
        .size:           2
        .value_kind:     by_value
      - .offset:         8
        .size:           8
        .value_kind:     by_value
      - .address_space:  global
        .offset:         16
        .size:           8
        .value_kind:     global_buffer
      - .offset:         24
        .size:           8
        .value_kind:     by_value
      - .offset:         32
        .size:           8
        .value_kind:     by_value
      - .address_space:  global
        .offset:         40
        .size:           8
        .value_kind:     global_buffer
      - .offset:         48
        .size:           8
        .value_kind:     by_value
      - .offset:         56
        .size:           8
        .value_kind:     by_value
      - .offset:         64
        .size:           4
        .value_kind:     by_value
    .group_segment_fixed_size: 0
    .kernarg_segment_align: 8
    .kernarg_segment_size: 68
    .language:       OpenCL C
    .language_version:
      - 2
      - 0
    .max_flat_workgroup_size: 256
    .name:           _ZL26rocblas_haxpy_mlt_8_kernelILi256EDF16_PK16rocblas_bfloat16PS0_EviT0_lT1_llT2_lli
    .private_segment_fixed_size: 0
    .sgpr_count:     24
    .sgpr_spill_count: 0
    .symbol:         _ZL26rocblas_haxpy_mlt_8_kernelILi256EDF16_PK16rocblas_bfloat16PS0_EviT0_lT1_llT2_lli.kd
    .uniform_work_group_size: 1
    .uses_dynamic_stack: false
    .vgpr_count:     12
    .vgpr_spill_count: 0
    .wavefront_size: 64
  - .args:
      - .offset:         0
        .size:           4
        .value_kind:     by_value
      - .offset:         4
        .size:           2
        .value_kind:     by_value
      - .offset:         8
        .size:           8
        .value_kind:     by_value
      - .address_space:  global
        .offset:         16
        .size:           8
        .value_kind:     global_buffer
      - .offset:         24
        .size:           8
        .value_kind:     by_value
      - .offset:         32
        .size:           8
        .value_kind:     by_value
      - .address_space:  global
        .offset:         40
        .size:           8
        .value_kind:     global_buffer
      - .offset:         48
        .size:           8
        .value_kind:     by_value
      - .offset:         56
        .size:           8
        .value_kind:     by_value
      - .offset:         64
        .size:           4
        .value_kind:     by_value
    .group_segment_fixed_size: 0
    .kernarg_segment_align: 8
    .kernarg_segment_size: 68
    .language:       OpenCL C
    .language_version:
      - 2
      - 0
    .max_flat_workgroup_size: 256
    .name:           _ZL26rocblas_haxpy_mod_8_kernelILi256E16rocblas_bfloat16PKS0_PS0_EviT0_lT1_llT2_lli
    .private_segment_fixed_size: 0
    .sgpr_count:     22
    .sgpr_spill_count: 0
    .symbol:         _ZL26rocblas_haxpy_mod_8_kernelILi256E16rocblas_bfloat16PKS0_PS0_EviT0_lT1_llT2_lli.kd
    .uniform_work_group_size: 1
    .uses_dynamic_stack: false
    .vgpr_count:     5
    .vgpr_spill_count: 0
    .wavefront_size: 64
  - .args:
      - .offset:         0
        .size:           4
        .value_kind:     by_value
      - .address_space:  global
        .offset:         8
        .size:           8
        .value_kind:     global_buffer
      - .offset:         16
        .size:           8
        .value_kind:     by_value
      - .actual_access:  read_only
        .address_space:  global
        .offset:         24
        .size:           8
        .value_kind:     global_buffer
      - .offset:         32
        .size:           8
        .value_kind:     by_value
      - .offset:         40
        .size:           8
        .value_kind:     by_value
      - .address_space:  global
        .offset:         48
        .size:           8
        .value_kind:     global_buffer
      - .offset:         56
        .size:           8
        .value_kind:     by_value
      - .offset:         64
        .size:           8
        .value_kind:     by_value
      - .offset:         72
        .size:           4
        .value_kind:     by_value
    .group_segment_fixed_size: 0
    .kernarg_segment_align: 8
    .kernarg_segment_size: 76
    .language:       OpenCL C
    .language_version:
      - 2
      - 0
    .max_flat_workgroup_size: 256
    .name:           _ZL22rocblas_saxpy_2_kernelILi256EfPK16rocblas_bfloat16S2_PS0_EviT1_lT2_llT3_lli
    .private_segment_fixed_size: 0
    .sgpr_count:     22
    .sgpr_spill_count: 0
    .symbol:         _ZL22rocblas_saxpy_2_kernelILi256EfPK16rocblas_bfloat16S2_PS0_EviT1_lT2_llT3_lli.kd
    .uniform_work_group_size: 1
    .uses_dynamic_stack: false
    .vgpr_count:     14
    .vgpr_spill_count: 0
    .wavefront_size: 64
  - .args:
      - .offset:         0
        .size:           4
        .value_kind:     by_value
      - .offset:         4
        .size:           2
        .value_kind:     by_value
      - .offset:         8
        .size:           8
        .value_kind:     by_value
      - .actual_access:  read_only
        .address_space:  global
        .offset:         16
        .size:           8
        .value_kind:     global_buffer
      - .offset:         24
        .size:           8
        .value_kind:     by_value
      - .offset:         32
        .size:           8
        .value_kind:     by_value
      - .address_space:  global
        .offset:         40
        .size:           8
        .value_kind:     global_buffer
      - .offset:         48
        .size:           8
        .value_kind:     by_value
      - .offset:         56
        .size:           8
        .value_kind:     by_value
      - .offset:         64
        .size:           4
        .value_kind:     by_value
    .group_segment_fixed_size: 0
    .kernarg_segment_align: 8
    .kernarg_segment_size: 68
    .language:       OpenCL C
    .language_version:
      - 2
      - 0
    .max_flat_workgroup_size: 256
    .name:           _ZL22rocblas_saxpy_2_kernelILi256Ef16rocblas_bfloat16PKS0_PS0_EviT1_lT2_llT3_lli
    .private_segment_fixed_size: 0
    .sgpr_count:     22
    .sgpr_spill_count: 0
    .symbol:         _ZL22rocblas_saxpy_2_kernelILi256Ef16rocblas_bfloat16PKS0_PS0_EviT1_lT2_llT3_lli.kd
    .uniform_work_group_size: 1
    .uses_dynamic_stack: false
    .vgpr_count:     12
    .vgpr_spill_count: 0
    .wavefront_size: 64
  - .args:
      - .offset:         0
        .size:           4
        .value_kind:     by_value
      - .address_space:  global
        .offset:         8
        .size:           8
        .value_kind:     global_buffer
      - .offset:         16
        .size:           8
        .value_kind:     by_value
      - .address_space:  global
        .offset:         24
        .size:           8
        .value_kind:     global_buffer
      - .offset:         32
        .size:           8
        .value_kind:     by_value
      - .offset:         40
        .size:           4
        .value_kind:     by_value
      - .offset:         48
        .size:           8
        .value_kind:     by_value
      - .address_space:  global
        .offset:         56
        .size:           8
        .value_kind:     global_buffer
      - .offset:         64
        .size:           8
        .value_kind:     by_value
      - .offset:         72
        .size:           4
        .value_kind:     by_value
      - .offset:         80
        .size:           8
        .value_kind:     by_value
      - .offset:         88
        .size:           4
        .value_kind:     by_value
    .group_segment_fixed_size: 0
    .kernarg_segment_align: 8
    .kernarg_segment_size: 92
    .language:       OpenCL C
    .language_version:
      - 2
      - 0
    .max_flat_workgroup_size: 1024
    .name:           _ZL27rocblas_axpy_kernel_batchedIiLi128ELi8EfPK16rocblas_bfloat16S2_PS0_EviT3_lT4_lT_lT5_lS6_li
    .private_segment_fixed_size: 0
    .sgpr_count:     27
    .sgpr_spill_count: 0
    .symbol:         _ZL27rocblas_axpy_kernel_batchedIiLi128ELi8EfPK16rocblas_bfloat16S2_PS0_EviT3_lT4_lT_lT5_lS6_li.kd
    .uniform_work_group_size: 1
    .uses_dynamic_stack: false
    .vgpr_count:     15
    .vgpr_spill_count: 0
    .wavefront_size: 64
  - .args:
      - .offset:         0
        .size:           4
        .value_kind:     by_value
      - .offset:         4
        .size:           2
        .value_kind:     by_value
      - .offset:         8
        .size:           8
        .value_kind:     by_value
      - .address_space:  global
        .offset:         16
        .size:           8
        .value_kind:     global_buffer
      - .offset:         24
        .size:           8
        .value_kind:     by_value
      - .offset:         32
        .size:           4
        .value_kind:     by_value
      - .offset:         40
        .size:           8
        .value_kind:     by_value
      - .address_space:  global
        .offset:         48
        .size:           8
        .value_kind:     global_buffer
      - .offset:         56
        .size:           8
        .value_kind:     by_value
      - .offset:         64
        .size:           4
        .value_kind:     by_value
      - .offset:         72
        .size:           8
        .value_kind:     by_value
      - .offset:         80
        .size:           4
        .value_kind:     by_value
    .group_segment_fixed_size: 0
    .kernarg_segment_align: 8
    .kernarg_segment_size: 84
    .language:       OpenCL C
    .language_version:
      - 2
      - 0
    .max_flat_workgroup_size: 1024
    .name:           _ZL27rocblas_axpy_kernel_batchedIiLi128ELi8Ef16rocblas_bfloat16PKS0_PS0_EviT3_lT4_lT_lT5_lS6_li
    .private_segment_fixed_size: 0
    .sgpr_count:     24
    .sgpr_spill_count: 0
    .symbol:         _ZL27rocblas_axpy_kernel_batchedIiLi128ELi8Ef16rocblas_bfloat16PKS0_PS0_EviT3_lT4_lT_lT5_lS6_li.kd
    .uniform_work_group_size: 1
    .uses_dynamic_stack: false
    .vgpr_count:     13
    .vgpr_spill_count: 0
    .wavefront_size: 64
  - .args:
      - .offset:         0
        .size:           4
        .value_kind:     by_value
      - .address_space:  global
        .offset:         8
        .size:           8
        .value_kind:     global_buffer
      - .offset:         16
        .size:           8
        .value_kind:     by_value
      - .actual_access:  read_only
        .address_space:  global
        .offset:         24
        .size:           8
        .value_kind:     global_buffer
      - .offset:         32
        .size:           8
        .value_kind:     by_value
      - .offset:         40
        .size:           4
        .value_kind:     by_value
      - .offset:         48
        .size:           8
        .value_kind:     by_value
      - .address_space:  global
        .offset:         56
        .size:           8
        .value_kind:     global_buffer
      - .offset:         64
        .size:           8
        .value_kind:     by_value
      - .offset:         72
        .size:           4
        .value_kind:     by_value
      - .offset:         80
        .size:           8
        .value_kind:     by_value
      - .offset:         88
        .size:           4
        .value_kind:     by_value
    .group_segment_fixed_size: 0
    .kernarg_segment_align: 8
    .kernarg_segment_size: 92
    .language:       OpenCL C
    .language_version:
      - 2
      - 0
    .max_flat_workgroup_size: 256
    .name:           _ZL19rocblas_axpy_kernelIiLi256EfPK16rocblas_bfloat16S2_PS0_EviT2_lT3_lT_lT4_lS6_li
    .private_segment_fixed_size: 0
    .sgpr_count:     21
    .sgpr_spill_count: 0
    .symbol:         _ZL19rocblas_axpy_kernelIiLi256EfPK16rocblas_bfloat16S2_PS0_EviT2_lT3_lT_lT4_lS6_li.kd
    .uniform_work_group_size: 1
    .uses_dynamic_stack: false
    .vgpr_count:     8
    .vgpr_spill_count: 0
    .wavefront_size: 64
  - .args:
      - .offset:         0
        .size:           4
        .value_kind:     by_value
      - .offset:         4
        .size:           2
        .value_kind:     by_value
      - .offset:         8
        .size:           8
        .value_kind:     by_value
      - .actual_access:  read_only
        .address_space:  global
        .offset:         16
        .size:           8
        .value_kind:     global_buffer
      - .offset:         24
        .size:           8
        .value_kind:     by_value
      - .offset:         32
        .size:           4
        .value_kind:     by_value
      - .offset:         40
        .size:           8
        .value_kind:     by_value
      - .address_space:  global
        .offset:         48
        .size:           8
        .value_kind:     global_buffer
      - .offset:         56
        .size:           8
        .value_kind:     by_value
      - .offset:         64
        .size:           4
        .value_kind:     by_value
      - .offset:         72
        .size:           8
        .value_kind:     by_value
      - .offset:         80
        .size:           4
        .value_kind:     by_value
    .group_segment_fixed_size: 0
    .kernarg_segment_align: 8
    .kernarg_segment_size: 84
    .language:       OpenCL C
    .language_version:
      - 2
      - 0
    .max_flat_workgroup_size: 256
    .name:           _ZL19rocblas_axpy_kernelIiLi256Ef16rocblas_bfloat16PKS0_PS0_EviT2_lT3_lT_lT4_lS6_li
    .private_segment_fixed_size: 0
    .sgpr_count:     22
    .sgpr_spill_count: 0
    .symbol:         _ZL19rocblas_axpy_kernelIiLi256Ef16rocblas_bfloat16PKS0_PS0_EviT2_lT3_lT_lT4_lS6_li.kd
    .uniform_work_group_size: 1
    .uses_dynamic_stack: false
    .vgpr_count:     7
    .vgpr_spill_count: 0
    .wavefront_size: 64
  - .args:
      - .offset:         0
        .size:           4
        .value_kind:     by_value
      - .address_space:  global
        .offset:         8
        .size:           8
        .value_kind:     global_buffer
      - .offset:         16
        .size:           8
        .value_kind:     by_value
      - .address_space:  global
        .offset:         24
        .size:           8
        .value_kind:     global_buffer
      - .offset:         32
        .size:           8
        .value_kind:     by_value
      - .offset:         40
        .size:           8
        .value_kind:     by_value
      - .address_space:  global
        .offset:         48
        .size:           8
        .value_kind:     global_buffer
      - .offset:         56
        .size:           8
        .value_kind:     by_value
      - .offset:         64
        .size:           8
        .value_kind:     by_value
      - .offset:         72
        .size:           4
        .value_kind:     by_value
    .group_segment_fixed_size: 0
    .kernarg_segment_align: 8
    .kernarg_segment_size: 76
    .language:       OpenCL C
    .language_version:
      - 2
      - 0
    .max_flat_workgroup_size: 256
    .name:           _ZL26rocblas_haxpy_mod_8_kernelILi256EPKfPK16rocblas_bfloat16PS2_EviT0_lT1_llT2_lli
    .private_segment_fixed_size: 0
    .sgpr_count:     28
    .sgpr_spill_count: 0
    .symbol:         _ZL26rocblas_haxpy_mod_8_kernelILi256EPKfPK16rocblas_bfloat16PS2_EviT0_lT1_llT2_lli.kd
    .uniform_work_group_size: 1
    .uses_dynamic_stack: false
    .vgpr_count:     5
    .vgpr_spill_count: 0
    .wavefront_size: 64
  - .args:
      - .offset:         0
        .size:           4
        .value_kind:     by_value
      - .offset:         4
        .size:           4
        .value_kind:     by_value
      - .offset:         8
        .size:           8
        .value_kind:     by_value
      - .address_space:  global
        .offset:         16
        .size:           8
        .value_kind:     global_buffer
      - .offset:         24
        .size:           8
        .value_kind:     by_value
      - .offset:         32
        .size:           8
        .value_kind:     by_value
      - .address_space:  global
        .offset:         40
        .size:           8
        .value_kind:     global_buffer
      - .offset:         48
        .size:           8
        .value_kind:     by_value
      - .offset:         56
        .size:           8
        .value_kind:     by_value
      - .offset:         64
        .size:           4
        .value_kind:     by_value
    .group_segment_fixed_size: 0
    .kernarg_segment_align: 8
    .kernarg_segment_size: 68
    .language:       OpenCL C
    .language_version:
      - 2
      - 0
    .max_flat_workgroup_size: 256
    .name:           _ZL26rocblas_haxpy_mod_8_kernelILi256EfPK16rocblas_bfloat16PS0_EviT0_lT1_llT2_lli
    .private_segment_fixed_size: 0
    .sgpr_count:     22
    .sgpr_spill_count: 0
    .symbol:         _ZL26rocblas_haxpy_mod_8_kernelILi256EfPK16rocblas_bfloat16PS0_EviT0_lT1_llT2_lli.kd
    .uniform_work_group_size: 1
    .uses_dynamic_stack: false
    .vgpr_count:     5
    .vgpr_spill_count: 0
    .wavefront_size: 64
  - .args:
      - .offset:         0
        .size:           4
        .value_kind:     by_value
      - .address_space:  global
        .offset:         8
        .size:           8
        .value_kind:     global_buffer
      - .offset:         16
        .size:           8
        .value_kind:     by_value
      - .actual_access:  read_only
        .address_space:  global
        .offset:         24
        .size:           8
        .value_kind:     global_buffer
      - .offset:         32
        .size:           8
        .value_kind:     by_value
      - .offset:         40
        .size:           8
        .value_kind:     by_value
      - .address_space:  global
        .offset:         48
        .size:           8
        .value_kind:     global_buffer
      - .offset:         56
        .size:           8
        .value_kind:     by_value
      - .offset:         64
        .size:           8
        .value_kind:     by_value
      - .offset:         72
        .size:           4
        .value_kind:     by_value
    .group_segment_fixed_size: 0
    .kernarg_segment_align: 8
    .kernarg_segment_size: 76
    .language:       OpenCL C
    .language_version:
      - 2
      - 0
    .max_flat_workgroup_size: 256
    .name:           _ZL22rocblas_saxpy_2_kernelILi256EfPKfPK16rocblas_bfloat16PS2_EviT1_lT2_llT3_lli
    .private_segment_fixed_size: 0
    .sgpr_count:     22
    .sgpr_spill_count: 0
    .symbol:         _ZL22rocblas_saxpy_2_kernelILi256EfPKfPK16rocblas_bfloat16PS2_EviT1_lT2_llT3_lli.kd
    .uniform_work_group_size: 1
    .uses_dynamic_stack: false
    .vgpr_count:     12
    .vgpr_spill_count: 0
    .wavefront_size: 64
  - .args:
      - .offset:         0
        .size:           4
        .value_kind:     by_value
      - .offset:         4
        .size:           4
        .value_kind:     by_value
      - .offset:         8
        .size:           8
        .value_kind:     by_value
      - .actual_access:  read_only
        .address_space:  global
        .offset:         16
        .size:           8
        .value_kind:     global_buffer
      - .offset:         24
        .size:           8
        .value_kind:     by_value
      - .offset:         32
        .size:           8
        .value_kind:     by_value
      - .address_space:  global
        .offset:         40
        .size:           8
        .value_kind:     global_buffer
      - .offset:         48
        .size:           8
        .value_kind:     by_value
      - .offset:         56
        .size:           8
        .value_kind:     by_value
      - .offset:         64
        .size:           4
        .value_kind:     by_value
    .group_segment_fixed_size: 0
    .kernarg_segment_align: 8
    .kernarg_segment_size: 68
    .language:       OpenCL C
    .language_version:
      - 2
      - 0
    .max_flat_workgroup_size: 256
    .name:           _ZL22rocblas_saxpy_2_kernelILi256EffPK16rocblas_bfloat16PS0_EviT1_lT2_llT3_lli
    .private_segment_fixed_size: 0
    .sgpr_count:     22
    .sgpr_spill_count: 0
    .symbol:         _ZL22rocblas_saxpy_2_kernelILi256EffPK16rocblas_bfloat16PS0_EviT1_lT2_llT3_lli.kd
    .uniform_work_group_size: 1
    .uses_dynamic_stack: false
    .vgpr_count:     12
    .vgpr_spill_count: 0
    .wavefront_size: 64
  - .args:
      - .offset:         0
        .size:           4
        .value_kind:     by_value
      - .address_space:  global
        .offset:         8
        .size:           8
        .value_kind:     global_buffer
      - .offset:         16
        .size:           8
        .value_kind:     by_value
      - .address_space:  global
        .offset:         24
        .size:           8
        .value_kind:     global_buffer
      - .offset:         32
        .size:           8
        .value_kind:     by_value
      - .offset:         40
        .size:           4
        .value_kind:     by_value
      - .offset:         48
        .size:           8
        .value_kind:     by_value
      - .address_space:  global
        .offset:         56
        .size:           8
        .value_kind:     global_buffer
      - .offset:         64
        .size:           8
        .value_kind:     by_value
      - .offset:         72
        .size:           4
        .value_kind:     by_value
      - .offset:         80
        .size:           8
        .value_kind:     by_value
      - .offset:         88
        .size:           4
        .value_kind:     by_value
    .group_segment_fixed_size: 0
    .kernarg_segment_align: 8
    .kernarg_segment_size: 92
    .language:       OpenCL C
    .language_version:
      - 2
      - 0
    .max_flat_workgroup_size: 1024
    .name:           _ZL27rocblas_axpy_kernel_batchedIiLi128ELi8EfPKfPK16rocblas_bfloat16PS2_EviT3_lT4_lT_lT5_lS8_li
    .private_segment_fixed_size: 0
    .sgpr_count:     27
    .sgpr_spill_count: 0
    .symbol:         _ZL27rocblas_axpy_kernel_batchedIiLi128ELi8EfPKfPK16rocblas_bfloat16PS2_EviT3_lT4_lT_lT5_lS8_li.kd
    .uniform_work_group_size: 1
    .uses_dynamic_stack: false
    .vgpr_count:     15
    .vgpr_spill_count: 0
    .wavefront_size: 64
  - .args:
      - .offset:         0
        .size:           4
        .value_kind:     by_value
      - .offset:         4
        .size:           4
        .value_kind:     by_value
      - .offset:         8
        .size:           8
        .value_kind:     by_value
      - .address_space:  global
        .offset:         16
        .size:           8
        .value_kind:     global_buffer
      - .offset:         24
        .size:           8
        .value_kind:     by_value
      - .offset:         32
        .size:           4
        .value_kind:     by_value
      - .offset:         40
        .size:           8
        .value_kind:     by_value
      - .address_space:  global
        .offset:         48
        .size:           8
        .value_kind:     global_buffer
      - .offset:         56
        .size:           8
        .value_kind:     by_value
      - .offset:         64
        .size:           4
        .value_kind:     by_value
      - .offset:         72
        .size:           8
        .value_kind:     by_value
      - .offset:         80
        .size:           4
        .value_kind:     by_value
    .group_segment_fixed_size: 0
    .kernarg_segment_align: 8
    .kernarg_segment_size: 84
    .language:       OpenCL C
    .language_version:
      - 2
      - 0
    .max_flat_workgroup_size: 1024
    .name:           _ZL27rocblas_axpy_kernel_batchedIiLi128ELi8EffPK16rocblas_bfloat16PS0_EviT3_lT4_lT_lT5_lS6_li
    .private_segment_fixed_size: 0
    .sgpr_count:     24
    .sgpr_spill_count: 0
    .symbol:         _ZL27rocblas_axpy_kernel_batchedIiLi128ELi8EffPK16rocblas_bfloat16PS0_EviT3_lT4_lT_lT5_lS6_li.kd
    .uniform_work_group_size: 1
    .uses_dynamic_stack: false
    .vgpr_count:     13
    .vgpr_spill_count: 0
    .wavefront_size: 64
  - .args:
      - .offset:         0
        .size:           4
        .value_kind:     by_value
      - .address_space:  global
        .offset:         8
        .size:           8
        .value_kind:     global_buffer
      - .offset:         16
        .size:           8
        .value_kind:     by_value
      - .actual_access:  read_only
        .address_space:  global
        .offset:         24
        .size:           8
        .value_kind:     global_buffer
      - .offset:         32
        .size:           8
        .value_kind:     by_value
      - .offset:         40
        .size:           4
        .value_kind:     by_value
      - .offset:         48
        .size:           8
        .value_kind:     by_value
      - .address_space:  global
        .offset:         56
        .size:           8
        .value_kind:     global_buffer
      - .offset:         64
        .size:           8
        .value_kind:     by_value
      - .offset:         72
        .size:           4
        .value_kind:     by_value
      - .offset:         80
        .size:           8
        .value_kind:     by_value
      - .offset:         88
        .size:           4
        .value_kind:     by_value
    .group_segment_fixed_size: 0
    .kernarg_segment_align: 8
    .kernarg_segment_size: 92
    .language:       OpenCL C
    .language_version:
      - 2
      - 0
    .max_flat_workgroup_size: 256
    .name:           _ZL19rocblas_axpy_kernelIiLi256EfPKfPK16rocblas_bfloat16PS2_EviT2_lT3_lT_lT4_lS8_li
    .private_segment_fixed_size: 0
    .sgpr_count:     22
    .sgpr_spill_count: 0
    .symbol:         _ZL19rocblas_axpy_kernelIiLi256EfPKfPK16rocblas_bfloat16PS2_EviT2_lT3_lT_lT4_lS8_li.kd
    .uniform_work_group_size: 1
    .uses_dynamic_stack: false
    .vgpr_count:     7
    .vgpr_spill_count: 0
    .wavefront_size: 64
  - .args:
      - .offset:         0
        .size:           4
        .value_kind:     by_value
      - .offset:         4
        .size:           4
        .value_kind:     by_value
      - .offset:         8
        .size:           8
        .value_kind:     by_value
      - .actual_access:  read_only
        .address_space:  global
        .offset:         16
        .size:           8
        .value_kind:     global_buffer
      - .offset:         24
        .size:           8
        .value_kind:     by_value
      - .offset:         32
        .size:           4
        .value_kind:     by_value
      - .offset:         40
        .size:           8
        .value_kind:     by_value
      - .address_space:  global
        .offset:         48
        .size:           8
        .value_kind:     global_buffer
      - .offset:         56
        .size:           8
        .value_kind:     by_value
      - .offset:         64
        .size:           4
        .value_kind:     by_value
      - .offset:         72
        .size:           8
        .value_kind:     by_value
      - .offset:         80
        .size:           4
        .value_kind:     by_value
    .group_segment_fixed_size: 0
    .kernarg_segment_align: 8
    .kernarg_segment_size: 84
    .language:       OpenCL C
    .language_version:
      - 2
      - 0
    .max_flat_workgroup_size: 256
    .name:           _ZL19rocblas_axpy_kernelIiLi256EffPK16rocblas_bfloat16PS0_EviT2_lT3_lT_lT4_lS6_li
    .private_segment_fixed_size: 0
    .sgpr_count:     22
    .sgpr_spill_count: 0
    .symbol:         _ZL19rocblas_axpy_kernelIiLi256EffPK16rocblas_bfloat16PS0_EviT2_lT3_lT_lT4_lS6_li.kd
    .uniform_work_group_size: 1
    .uses_dynamic_stack: false
    .vgpr_count:     7
    .vgpr_spill_count: 0
    .wavefront_size: 64
  - .args:
      - .offset:         0
        .size:           4
        .value_kind:     by_value
      - .address_space:  global
        .offset:         8
        .size:           8
        .value_kind:     global_buffer
      - .offset:         16
        .size:           8
        .value_kind:     by_value
      - .address_space:  global
        .offset:         24
        .size:           8
        .value_kind:     global_buffer
      - .offset:         32
        .size:           8
        .value_kind:     by_value
      - .offset:         40
        .size:           8
        .value_kind:     by_value
      - .address_space:  global
        .offset:         48
        .size:           8
        .value_kind:     global_buffer
      - .offset:         56
        .size:           8
        .value_kind:     by_value
      - .offset:         64
        .size:           8
        .value_kind:     by_value
      - .offset:         72
        .size:           4
        .value_kind:     by_value
    .group_segment_fixed_size: 0
    .kernarg_segment_align: 8
    .kernarg_segment_size: 76
    .language:       OpenCL C
    .language_version:
      - 2
      - 0
    .max_flat_workgroup_size: 256
    .name:           _ZL26rocblas_haxpy_mlt_8_kernelILi256EPKDF16_S1_PDF16_EviT0_lT1_llT2_lli
    .private_segment_fixed_size: 0
    .sgpr_count:     28
    .sgpr_spill_count: 0
    .symbol:         _ZL26rocblas_haxpy_mlt_8_kernelILi256EPKDF16_S1_PDF16_EviT0_lT1_llT2_lli.kd
    .uniform_work_group_size: 1
    .uses_dynamic_stack: false
    .vgpr_count:     13
    .vgpr_spill_count: 0
    .wavefront_size: 64
  - .args:
      - .offset:         0
        .size:           4
        .value_kind:     by_value
      - .address_space:  global
        .offset:         8
        .size:           8
        .value_kind:     global_buffer
      - .offset:         16
        .size:           8
        .value_kind:     by_value
      - .address_space:  global
        .offset:         24
        .size:           8
        .value_kind:     global_buffer
      - .offset:         32
        .size:           8
        .value_kind:     by_value
      - .offset:         40
        .size:           8
        .value_kind:     by_value
      - .address_space:  global
        .offset:         48
        .size:           8
        .value_kind:     global_buffer
      - .offset:         56
        .size:           8
        .value_kind:     by_value
      - .offset:         64
        .size:           8
        .value_kind:     by_value
      - .offset:         72
        .size:           4
        .value_kind:     by_value
    .group_segment_fixed_size: 0
    .kernarg_segment_align: 8
    .kernarg_segment_size: 76
    .language:       OpenCL C
    .language_version:
      - 2
      - 0
    .max_flat_workgroup_size: 256
    .name:           _ZL26rocblas_haxpy_mod_8_kernelILi256EPKDF16_S1_PDF16_EviT0_lT1_llT2_lli
    .private_segment_fixed_size: 0
    .sgpr_count:     28
    .sgpr_spill_count: 0
    .symbol:         _ZL26rocblas_haxpy_mod_8_kernelILi256EPKDF16_S1_PDF16_EviT0_lT1_llT2_lli.kd
    .uniform_work_group_size: 1
    .uses_dynamic_stack: false
    .vgpr_count:     7
    .vgpr_spill_count: 0
    .wavefront_size: 64
  - .args:
      - .offset:         0
        .size:           4
        .value_kind:     by_value
      - .offset:         4
        .size:           2
        .value_kind:     by_value
      - .offset:         8
        .size:           8
        .value_kind:     by_value
      - .address_space:  global
        .offset:         16
        .size:           8
        .value_kind:     global_buffer
      - .offset:         24
        .size:           8
        .value_kind:     by_value
      - .offset:         32
        .size:           8
        .value_kind:     by_value
      - .address_space:  global
        .offset:         40
        .size:           8
        .value_kind:     global_buffer
      - .offset:         48
        .size:           8
        .value_kind:     by_value
      - .offset:         56
        .size:           8
        .value_kind:     by_value
      - .offset:         64
        .size:           4
        .value_kind:     by_value
    .group_segment_fixed_size: 0
    .kernarg_segment_align: 8
    .kernarg_segment_size: 68
    .language:       OpenCL C
    .language_version:
      - 2
      - 0
    .max_flat_workgroup_size: 256
    .name:           _ZL26rocblas_haxpy_mlt_8_kernelILi256EDF16_PKDF16_PDF16_EviT0_lT1_llT2_lli
    .private_segment_fixed_size: 0
    .sgpr_count:     24
    .sgpr_spill_count: 0
    .symbol:         _ZL26rocblas_haxpy_mlt_8_kernelILi256EDF16_PKDF16_PDF16_EviT0_lT1_llT2_lli.kd
    .uniform_work_group_size: 1
    .uses_dynamic_stack: false
    .vgpr_count:     12
    .vgpr_spill_count: 0
    .wavefront_size: 64
  - .args:
      - .offset:         0
        .size:           4
        .value_kind:     by_value
      - .offset:         4
        .size:           2
        .value_kind:     by_value
      - .offset:         8
        .size:           8
        .value_kind:     by_value
      - .address_space:  global
        .offset:         16
        .size:           8
        .value_kind:     global_buffer
      - .offset:         24
        .size:           8
        .value_kind:     by_value
      - .offset:         32
        .size:           8
        .value_kind:     by_value
      - .address_space:  global
        .offset:         40
        .size:           8
        .value_kind:     global_buffer
      - .offset:         48
        .size:           8
        .value_kind:     by_value
      - .offset:         56
        .size:           8
        .value_kind:     by_value
      - .offset:         64
        .size:           4
        .value_kind:     by_value
    .group_segment_fixed_size: 0
    .kernarg_segment_align: 8
    .kernarg_segment_size: 68
    .language:       OpenCL C
    .language_version:
      - 2
      - 0
    .max_flat_workgroup_size: 256
    .name:           _ZL26rocblas_haxpy_mod_8_kernelILi256EDF16_PKDF16_PDF16_EviT0_lT1_llT2_lli
    .private_segment_fixed_size: 0
    .sgpr_count:     24
    .sgpr_spill_count: 0
    .symbol:         _ZL26rocblas_haxpy_mod_8_kernelILi256EDF16_PKDF16_PDF16_EviT0_lT1_llT2_lli.kd
    .uniform_work_group_size: 1
    .uses_dynamic_stack: false
    .vgpr_count:     6
    .vgpr_spill_count: 0
    .wavefront_size: 64
  - .args:
      - .offset:         0
        .size:           4
        .value_kind:     by_value
      - .address_space:  global
        .offset:         8
        .size:           8
        .value_kind:     global_buffer
      - .offset:         16
        .size:           8
        .value_kind:     by_value
      - .actual_access:  read_only
        .address_space:  global
        .offset:         24
        .size:           8
        .value_kind:     global_buffer
      - .offset:         32
        .size:           8
        .value_kind:     by_value
      - .offset:         40
        .size:           8
        .value_kind:     by_value
      - .address_space:  global
        .offset:         48
        .size:           8
        .value_kind:     global_buffer
      - .offset:         56
        .size:           8
        .value_kind:     by_value
      - .offset:         64
        .size:           8
        .value_kind:     by_value
      - .offset:         72
        .size:           4
        .value_kind:     by_value
    .group_segment_fixed_size: 0
    .kernarg_segment_align: 8
    .kernarg_segment_size: 76
    .language:       OpenCL C
    .language_version:
      - 2
      - 0
    .max_flat_workgroup_size: 256
    .name:           _ZL22rocblas_saxpy_2_kernelILi256EfPKDF16_S1_PDF16_EviT1_lT2_llT3_lli
    .private_segment_fixed_size: 0
    .sgpr_count:     22
    .sgpr_spill_count: 0
    .symbol:         _ZL22rocblas_saxpy_2_kernelILi256EfPKDF16_S1_PDF16_EviT1_lT2_llT3_lli.kd
    .uniform_work_group_size: 1
    .uses_dynamic_stack: false
    .vgpr_count:     11
    .vgpr_spill_count: 0
    .wavefront_size: 64
  - .args:
      - .offset:         0
        .size:           4
        .value_kind:     by_value
      - .offset:         4
        .size:           2
        .value_kind:     by_value
      - .offset:         8
        .size:           8
        .value_kind:     by_value
      - .actual_access:  read_only
        .address_space:  global
        .offset:         16
        .size:           8
        .value_kind:     global_buffer
      - .offset:         24
        .size:           8
        .value_kind:     by_value
      - .offset:         32
        .size:           8
        .value_kind:     by_value
      - .address_space:  global
        .offset:         40
        .size:           8
        .value_kind:     global_buffer
      - .offset:         48
        .size:           8
        .value_kind:     by_value
      - .offset:         56
        .size:           8
        .value_kind:     by_value
      - .offset:         64
        .size:           4
        .value_kind:     by_value
    .group_segment_fixed_size: 0
    .kernarg_segment_align: 8
    .kernarg_segment_size: 68
    .language:       OpenCL C
    .language_version:
      - 2
      - 0
    .max_flat_workgroup_size: 256
    .name:           _ZL22rocblas_saxpy_2_kernelILi256EfDF16_PKDF16_PDF16_EviT1_lT2_llT3_lli
    .private_segment_fixed_size: 0
    .sgpr_count:     22
    .sgpr_spill_count: 0
    .symbol:         _ZL22rocblas_saxpy_2_kernelILi256EfDF16_PKDF16_PDF16_EviT1_lT2_llT3_lli.kd
    .uniform_work_group_size: 1
    .uses_dynamic_stack: false
    .vgpr_count:     10
    .vgpr_spill_count: 0
    .wavefront_size: 64
  - .args:
      - .offset:         0
        .size:           4
        .value_kind:     by_value
      - .address_space:  global
        .offset:         8
        .size:           8
        .value_kind:     global_buffer
      - .offset:         16
        .size:           8
        .value_kind:     by_value
      - .address_space:  global
        .offset:         24
        .size:           8
        .value_kind:     global_buffer
      - .offset:         32
        .size:           8
        .value_kind:     by_value
      - .offset:         40
        .size:           4
        .value_kind:     by_value
      - .offset:         48
        .size:           8
        .value_kind:     by_value
      - .address_space:  global
        .offset:         56
        .size:           8
        .value_kind:     global_buffer
      - .offset:         64
        .size:           8
        .value_kind:     by_value
      - .offset:         72
        .size:           4
        .value_kind:     by_value
      - .offset:         80
        .size:           8
        .value_kind:     by_value
      - .offset:         88
        .size:           4
        .value_kind:     by_value
    .group_segment_fixed_size: 0
    .kernarg_segment_align: 8
    .kernarg_segment_size: 92
    .language:       OpenCL C
    .language_version:
      - 2
      - 0
    .max_flat_workgroup_size: 1024
    .name:           _ZL27rocblas_axpy_kernel_batchedIiLi128ELi8EfPKDF16_S1_PDF16_EviT3_lT4_lT_lT5_lS5_li
    .private_segment_fixed_size: 0
    .sgpr_count:     27
    .sgpr_spill_count: 0
    .symbol:         _ZL27rocblas_axpy_kernel_batchedIiLi128ELi8EfPKDF16_S1_PDF16_EviT3_lT4_lT_lT5_lS5_li.kd
    .uniform_work_group_size: 1
    .uses_dynamic_stack: false
    .vgpr_count:     13
    .vgpr_spill_count: 0
    .wavefront_size: 64
  - .args:
      - .offset:         0
        .size:           4
        .value_kind:     by_value
      - .offset:         4
        .size:           2
        .value_kind:     by_value
      - .offset:         8
        .size:           8
        .value_kind:     by_value
      - .address_space:  global
        .offset:         16
        .size:           8
        .value_kind:     global_buffer
      - .offset:         24
        .size:           8
        .value_kind:     by_value
      - .offset:         32
        .size:           4
        .value_kind:     by_value
      - .offset:         40
        .size:           8
        .value_kind:     by_value
      - .address_space:  global
        .offset:         48
        .size:           8
        .value_kind:     global_buffer
      - .offset:         56
        .size:           8
        .value_kind:     by_value
      - .offset:         64
        .size:           4
        .value_kind:     by_value
      - .offset:         72
        .size:           8
        .value_kind:     by_value
      - .offset:         80
        .size:           4
        .value_kind:     by_value
    .group_segment_fixed_size: 0
    .kernarg_segment_align: 8
    .kernarg_segment_size: 84
    .language:       OpenCL C
    .language_version:
      - 2
      - 0
    .max_flat_workgroup_size: 1024
    .name:           _ZL27rocblas_axpy_kernel_batchedIiLi128ELi8EfDF16_PKDF16_PDF16_EviT3_lT4_lT_lT5_lS5_li
    .private_segment_fixed_size: 0
    .sgpr_count:     24
    .sgpr_spill_count: 0
    .symbol:         _ZL27rocblas_axpy_kernel_batchedIiLi128ELi8EfDF16_PKDF16_PDF16_EviT3_lT4_lT_lT5_lS5_li.kd
    .uniform_work_group_size: 1
    .uses_dynamic_stack: false
    .vgpr_count:     13
    .vgpr_spill_count: 0
    .wavefront_size: 64
  - .args:
      - .offset:         0
        .size:           4
        .value_kind:     by_value
      - .address_space:  global
        .offset:         8
        .size:           8
        .value_kind:     global_buffer
      - .offset:         16
        .size:           8
        .value_kind:     by_value
      - .actual_access:  read_only
        .address_space:  global
        .offset:         24
        .size:           8
        .value_kind:     global_buffer
      - .offset:         32
        .size:           8
        .value_kind:     by_value
      - .offset:         40
        .size:           4
        .value_kind:     by_value
      - .offset:         48
        .size:           8
        .value_kind:     by_value
      - .address_space:  global
        .offset:         56
        .size:           8
        .value_kind:     global_buffer
      - .offset:         64
        .size:           8
        .value_kind:     by_value
      - .offset:         72
        .size:           4
        .value_kind:     by_value
      - .offset:         80
        .size:           8
        .value_kind:     by_value
      - .offset:         88
        .size:           4
        .value_kind:     by_value
    .group_segment_fixed_size: 0
    .kernarg_segment_align: 8
    .kernarg_segment_size: 92
    .language:       OpenCL C
    .language_version:
      - 2
      - 0
    .max_flat_workgroup_size: 256
    .name:           _ZL19rocblas_axpy_kernelIiLi256EfPKDF16_S1_PDF16_EviT2_lT3_lT_lT4_lS5_li
    .private_segment_fixed_size: 0
    .sgpr_count:     21
    .sgpr_spill_count: 0
    .symbol:         _ZL19rocblas_axpy_kernelIiLi256EfPKDF16_S1_PDF16_EviT2_lT3_lT_lT4_lS5_li.kd
    .uniform_work_group_size: 1
    .uses_dynamic_stack: false
    .vgpr_count:     8
    .vgpr_spill_count: 0
    .wavefront_size: 64
  - .args:
      - .offset:         0
        .size:           4
        .value_kind:     by_value
      - .offset:         4
        .size:           2
        .value_kind:     by_value
      - .offset:         8
        .size:           8
        .value_kind:     by_value
      - .actual_access:  read_only
        .address_space:  global
        .offset:         16
        .size:           8
        .value_kind:     global_buffer
      - .offset:         24
        .size:           8
        .value_kind:     by_value
      - .offset:         32
        .size:           4
        .value_kind:     by_value
      - .offset:         40
        .size:           8
        .value_kind:     by_value
      - .address_space:  global
        .offset:         48
        .size:           8
        .value_kind:     global_buffer
      - .offset:         56
        .size:           8
        .value_kind:     by_value
      - .offset:         64
        .size:           4
        .value_kind:     by_value
      - .offset:         72
        .size:           8
        .value_kind:     by_value
      - .offset:         80
        .size:           4
        .value_kind:     by_value
    .group_segment_fixed_size: 0
    .kernarg_segment_align: 8
    .kernarg_segment_size: 84
    .language:       OpenCL C
    .language_version:
      - 2
      - 0
    .max_flat_workgroup_size: 256
    .name:           _ZL19rocblas_axpy_kernelIiLi256EfDF16_PKDF16_PDF16_EviT2_lT3_lT_lT4_lS5_li
    .private_segment_fixed_size: 0
    .sgpr_count:     22
    .sgpr_spill_count: 0
    .symbol:         _ZL19rocblas_axpy_kernelIiLi256EfDF16_PKDF16_PDF16_EviT2_lT3_lT_lT4_lS5_li.kd
    .uniform_work_group_size: 1
    .uses_dynamic_stack: false
    .vgpr_count:     7
    .vgpr_spill_count: 0
    .wavefront_size: 64
  - .args:
      - .offset:         0
        .size:           4
        .value_kind:     by_value
      - .address_space:  global
        .offset:         8
        .size:           8
        .value_kind:     global_buffer
      - .offset:         16
        .size:           8
        .value_kind:     by_value
      - .address_space:  global
        .offset:         24
        .size:           8
        .value_kind:     global_buffer
      - .offset:         32
        .size:           8
        .value_kind:     by_value
      - .offset:         40
        .size:           8
        .value_kind:     by_value
      - .address_space:  global
        .offset:         48
        .size:           8
        .value_kind:     global_buffer
      - .offset:         56
        .size:           8
        .value_kind:     by_value
      - .offset:         64
        .size:           8
        .value_kind:     by_value
      - .offset:         72
        .size:           4
        .value_kind:     by_value
    .group_segment_fixed_size: 0
    .kernarg_segment_align: 8
    .kernarg_segment_size: 76
    .language:       OpenCL C
    .language_version:
      - 2
      - 0
    .max_flat_workgroup_size: 256
    .name:           _ZL26rocblas_haxpy_mod_8_kernelILi256EPKfPKDF16_PDF16_EviT0_lT1_llT2_lli
    .private_segment_fixed_size: 0
    .sgpr_count:     28
    .sgpr_spill_count: 0
    .symbol:         _ZL26rocblas_haxpy_mod_8_kernelILi256EPKfPKDF16_PDF16_EviT0_lT1_llT2_lli.kd
    .uniform_work_group_size: 1
    .uses_dynamic_stack: false
    .vgpr_count:     6
    .vgpr_spill_count: 0
    .wavefront_size: 64
  - .args:
      - .offset:         0
        .size:           4
        .value_kind:     by_value
      - .offset:         4
        .size:           4
        .value_kind:     by_value
      - .offset:         8
        .size:           8
        .value_kind:     by_value
      - .address_space:  global
        .offset:         16
        .size:           8
        .value_kind:     global_buffer
      - .offset:         24
        .size:           8
        .value_kind:     by_value
      - .offset:         32
        .size:           8
        .value_kind:     by_value
      - .address_space:  global
        .offset:         40
        .size:           8
        .value_kind:     global_buffer
      - .offset:         48
        .size:           8
        .value_kind:     by_value
      - .offset:         56
        .size:           8
        .value_kind:     by_value
      - .offset:         64
        .size:           4
        .value_kind:     by_value
    .group_segment_fixed_size: 0
    .kernarg_segment_align: 8
    .kernarg_segment_size: 68
    .language:       OpenCL C
    .language_version:
      - 2
      - 0
    .max_flat_workgroup_size: 256
    .name:           _ZL26rocblas_haxpy_mod_8_kernelILi256EfPKDF16_PDF16_EviT0_lT1_llT2_lli
    .private_segment_fixed_size: 0
    .sgpr_count:     24
    .sgpr_spill_count: 0
    .symbol:         _ZL26rocblas_haxpy_mod_8_kernelILi256EfPKDF16_PDF16_EviT0_lT1_llT2_lli.kd
    .uniform_work_group_size: 1
    .uses_dynamic_stack: false
    .vgpr_count:     6
    .vgpr_spill_count: 0
    .wavefront_size: 64
  - .args:
      - .offset:         0
        .size:           4
        .value_kind:     by_value
      - .address_space:  global
        .offset:         8
        .size:           8
        .value_kind:     global_buffer
      - .offset:         16
        .size:           8
        .value_kind:     by_value
      - .actual_access:  read_only
        .address_space:  global
        .offset:         24
        .size:           8
        .value_kind:     global_buffer
      - .offset:         32
        .size:           8
        .value_kind:     by_value
      - .offset:         40
        .size:           8
        .value_kind:     by_value
      - .address_space:  global
        .offset:         48
        .size:           8
        .value_kind:     global_buffer
      - .offset:         56
        .size:           8
        .value_kind:     by_value
      - .offset:         64
        .size:           8
        .value_kind:     by_value
      - .offset:         72
        .size:           4
        .value_kind:     by_value
    .group_segment_fixed_size: 0
    .kernarg_segment_align: 8
    .kernarg_segment_size: 76
    .language:       OpenCL C
    .language_version:
      - 2
      - 0
    .max_flat_workgroup_size: 256
    .name:           _ZL22rocblas_saxpy_2_kernelILi256EfPKfPKDF16_PDF16_EviT1_lT2_llT3_lli
    .private_segment_fixed_size: 0
    .sgpr_count:     22
    .sgpr_spill_count: 0
    .symbol:         _ZL22rocblas_saxpy_2_kernelILi256EfPKfPKDF16_PDF16_EviT1_lT2_llT3_lli.kd
    .uniform_work_group_size: 1
    .uses_dynamic_stack: false
    .vgpr_count:     10
    .vgpr_spill_count: 0
    .wavefront_size: 64
  - .args:
      - .offset:         0
        .size:           4
        .value_kind:     by_value
      - .offset:         4
        .size:           4
        .value_kind:     by_value
      - .offset:         8
        .size:           8
        .value_kind:     by_value
      - .actual_access:  read_only
        .address_space:  global
        .offset:         16
        .size:           8
        .value_kind:     global_buffer
      - .offset:         24
        .size:           8
        .value_kind:     by_value
      - .offset:         32
        .size:           8
        .value_kind:     by_value
      - .address_space:  global
        .offset:         40
        .size:           8
        .value_kind:     global_buffer
      - .offset:         48
        .size:           8
        .value_kind:     by_value
      - .offset:         56
        .size:           8
        .value_kind:     by_value
      - .offset:         64
        .size:           4
        .value_kind:     by_value
    .group_segment_fixed_size: 0
    .kernarg_segment_align: 8
    .kernarg_segment_size: 68
    .language:       OpenCL C
    .language_version:
      - 2
      - 0
    .max_flat_workgroup_size: 256
    .name:           _ZL22rocblas_saxpy_2_kernelILi256EffPKDF16_PDF16_EviT1_lT2_llT3_lli
    .private_segment_fixed_size: 0
    .sgpr_count:     22
    .sgpr_spill_count: 0
    .symbol:         _ZL22rocblas_saxpy_2_kernelILi256EffPKDF16_PDF16_EviT1_lT2_llT3_lli.kd
    .uniform_work_group_size: 1
    .uses_dynamic_stack: false
    .vgpr_count:     10
    .vgpr_spill_count: 0
    .wavefront_size: 64
  - .args:
      - .offset:         0
        .size:           4
        .value_kind:     by_value
      - .address_space:  global
        .offset:         8
        .size:           8
        .value_kind:     global_buffer
      - .offset:         16
        .size:           8
        .value_kind:     by_value
      - .address_space:  global
        .offset:         24
        .size:           8
        .value_kind:     global_buffer
      - .offset:         32
        .size:           8
        .value_kind:     by_value
      - .offset:         40
        .size:           4
        .value_kind:     by_value
      - .offset:         48
        .size:           8
        .value_kind:     by_value
      - .address_space:  global
        .offset:         56
        .size:           8
        .value_kind:     global_buffer
      - .offset:         64
        .size:           8
        .value_kind:     by_value
      - .offset:         72
        .size:           4
        .value_kind:     by_value
      - .offset:         80
        .size:           8
        .value_kind:     by_value
      - .offset:         88
        .size:           4
        .value_kind:     by_value
    .group_segment_fixed_size: 0
    .kernarg_segment_align: 8
    .kernarg_segment_size: 92
    .language:       OpenCL C
    .language_version:
      - 2
      - 0
    .max_flat_workgroup_size: 1024
    .name:           _ZL27rocblas_axpy_kernel_batchedIiLi128ELi8EfPKfPKDF16_PDF16_EviT3_lT4_lT_lT5_lS7_li
    .private_segment_fixed_size: 0
    .sgpr_count:     27
    .sgpr_spill_count: 0
    .symbol:         _ZL27rocblas_axpy_kernel_batchedIiLi128ELi8EfPKfPKDF16_PDF16_EviT3_lT4_lT_lT5_lS7_li.kd
    .uniform_work_group_size: 1
    .uses_dynamic_stack: false
    .vgpr_count:     13
    .vgpr_spill_count: 0
    .wavefront_size: 64
  - .args:
      - .offset:         0
        .size:           4
        .value_kind:     by_value
      - .offset:         4
        .size:           4
        .value_kind:     by_value
      - .offset:         8
        .size:           8
        .value_kind:     by_value
      - .address_space:  global
        .offset:         16
        .size:           8
        .value_kind:     global_buffer
      - .offset:         24
        .size:           8
        .value_kind:     by_value
      - .offset:         32
        .size:           4
        .value_kind:     by_value
      - .offset:         40
        .size:           8
        .value_kind:     by_value
      - .address_space:  global
        .offset:         48
        .size:           8
        .value_kind:     global_buffer
      - .offset:         56
        .size:           8
        .value_kind:     by_value
      - .offset:         64
        .size:           4
        .value_kind:     by_value
      - .offset:         72
        .size:           8
        .value_kind:     by_value
      - .offset:         80
        .size:           4
        .value_kind:     by_value
    .group_segment_fixed_size: 0
    .kernarg_segment_align: 8
    .kernarg_segment_size: 84
    .language:       OpenCL C
    .language_version:
      - 2
      - 0
    .max_flat_workgroup_size: 1024
    .name:           _ZL27rocblas_axpy_kernel_batchedIiLi128ELi8EffPKDF16_PDF16_EviT3_lT4_lT_lT5_lS5_li
    .private_segment_fixed_size: 0
    .sgpr_count:     24
    .sgpr_spill_count: 0
    .symbol:         _ZL27rocblas_axpy_kernel_batchedIiLi128ELi8EffPKDF16_PDF16_EviT3_lT4_lT_lT5_lS5_li.kd
    .uniform_work_group_size: 1
    .uses_dynamic_stack: false
    .vgpr_count:     12
    .vgpr_spill_count: 0
    .wavefront_size: 64
  - .args:
      - .offset:         0
        .size:           4
        .value_kind:     by_value
      - .address_space:  global
        .offset:         8
        .size:           8
        .value_kind:     global_buffer
      - .offset:         16
        .size:           8
        .value_kind:     by_value
      - .actual_access:  read_only
        .address_space:  global
        .offset:         24
        .size:           8
        .value_kind:     global_buffer
      - .offset:         32
        .size:           8
        .value_kind:     by_value
      - .offset:         40
        .size:           4
        .value_kind:     by_value
      - .offset:         48
        .size:           8
        .value_kind:     by_value
      - .address_space:  global
        .offset:         56
        .size:           8
        .value_kind:     global_buffer
      - .offset:         64
        .size:           8
        .value_kind:     by_value
      - .offset:         72
        .size:           4
        .value_kind:     by_value
      - .offset:         80
        .size:           8
        .value_kind:     by_value
      - .offset:         88
        .size:           4
        .value_kind:     by_value
    .group_segment_fixed_size: 0
    .kernarg_segment_align: 8
    .kernarg_segment_size: 92
    .language:       OpenCL C
    .language_version:
      - 2
      - 0
    .max_flat_workgroup_size: 256
    .name:           _ZL19rocblas_axpy_kernelIiLi256EfPKfPKDF16_PDF16_EviT2_lT3_lT_lT4_lS7_li
    .private_segment_fixed_size: 0
    .sgpr_count:     22
    .sgpr_spill_count: 0
    .symbol:         _ZL19rocblas_axpy_kernelIiLi256EfPKfPKDF16_PDF16_EviT2_lT3_lT_lT4_lS7_li.kd
    .uniform_work_group_size: 1
    .uses_dynamic_stack: false
    .vgpr_count:     7
    .vgpr_spill_count: 0
    .wavefront_size: 64
  - .args:
      - .offset:         0
        .size:           4
        .value_kind:     by_value
      - .offset:         4
        .size:           4
        .value_kind:     by_value
      - .offset:         8
        .size:           8
        .value_kind:     by_value
      - .actual_access:  read_only
        .address_space:  global
        .offset:         16
        .size:           8
        .value_kind:     global_buffer
      - .offset:         24
        .size:           8
        .value_kind:     by_value
      - .offset:         32
        .size:           4
        .value_kind:     by_value
      - .offset:         40
        .size:           8
        .value_kind:     by_value
      - .address_space:  global
        .offset:         48
        .size:           8
        .value_kind:     global_buffer
      - .offset:         56
        .size:           8
        .value_kind:     by_value
      - .offset:         64
        .size:           4
        .value_kind:     by_value
      - .offset:         72
        .size:           8
        .value_kind:     by_value
      - .offset:         80
        .size:           4
        .value_kind:     by_value
    .group_segment_fixed_size: 0
    .kernarg_segment_align: 8
    .kernarg_segment_size: 84
    .language:       OpenCL C
    .language_version:
      - 2
      - 0
    .max_flat_workgroup_size: 256
    .name:           _ZL19rocblas_axpy_kernelIiLi256EffPKDF16_PDF16_EviT2_lT3_lT_lT4_lS5_li
    .private_segment_fixed_size: 0
    .sgpr_count:     22
    .sgpr_spill_count: 0
    .symbol:         _ZL19rocblas_axpy_kernelIiLi256EffPKDF16_PDF16_EviT2_lT3_lT_lT4_lS5_li.kd
    .uniform_work_group_size: 1
    .uses_dynamic_stack: false
    .vgpr_count:     7
    .vgpr_spill_count: 0
    .wavefront_size: 64
  - .args:
      - .offset:         0
        .size:           4
        .value_kind:     by_value
      - .address_space:  global
        .offset:         8
        .size:           8
        .value_kind:     global_buffer
      - .offset:         16
        .size:           8
        .value_kind:     by_value
      - .address_space:  global
        .offset:         24
        .size:           8
        .value_kind:     global_buffer
      - .offset:         32
        .size:           8
        .value_kind:     by_value
      - .offset:         40
        .size:           8
        .value_kind:     by_value
      - .address_space:  global
        .offset:         48
        .size:           8
        .value_kind:     global_buffer
      - .offset:         56
        .size:           8
        .value_kind:     by_value
      - .offset:         64
        .size:           8
        .value_kind:     by_value
      - .offset:         72
        .size:           4
        .value_kind:     by_value
    .group_segment_fixed_size: 0
    .kernarg_segment_align: 8
    .kernarg_segment_size: 76
    .language:       OpenCL C
    .language_version:
      - 2
      - 0
    .max_flat_workgroup_size: 256
    .name:           _ZL26rocblas_haxpy_mlt_8_kernelILi256EPKDF16_PKPK16rocblas_bfloat16PKPS2_EviT0_lT1_llT2_lli
    .private_segment_fixed_size: 0
    .sgpr_count:     20
    .sgpr_spill_count: 0
    .symbol:         _ZL26rocblas_haxpy_mlt_8_kernelILi256EPKDF16_PKPK16rocblas_bfloat16PKPS2_EviT0_lT1_llT2_lli.kd
    .uniform_work_group_size: 1
    .uses_dynamic_stack: false
    .vgpr_count:     13
    .vgpr_spill_count: 0
    .wavefront_size: 64
  - .args:
      - .offset:         0
        .size:           4
        .value_kind:     by_value
      - .address_space:  global
        .offset:         8
        .size:           8
        .value_kind:     global_buffer
      - .offset:         16
        .size:           8
        .value_kind:     by_value
      - .address_space:  global
        .offset:         24
        .size:           8
        .value_kind:     global_buffer
      - .offset:         32
        .size:           8
        .value_kind:     by_value
      - .offset:         40
        .size:           8
        .value_kind:     by_value
      - .address_space:  global
        .offset:         48
        .size:           8
        .value_kind:     global_buffer
      - .offset:         56
        .size:           8
        .value_kind:     by_value
      - .offset:         64
        .size:           8
        .value_kind:     by_value
      - .offset:         72
        .size:           4
        .value_kind:     by_value
    .group_segment_fixed_size: 0
    .kernarg_segment_align: 8
    .kernarg_segment_size: 76
    .language:       OpenCL C
    .language_version:
      - 2
      - 0
    .max_flat_workgroup_size: 256
    .name:           _ZL26rocblas_haxpy_mod_8_kernelILi256EPK16rocblas_bfloat16PKS2_PKPS0_EviT0_lT1_llT2_lli
    .private_segment_fixed_size: 0
    .sgpr_count:     20
    .sgpr_spill_count: 0
    .symbol:         _ZL26rocblas_haxpy_mod_8_kernelILi256EPK16rocblas_bfloat16PKS2_PKPS0_EviT0_lT1_llT2_lli.kd
    .uniform_work_group_size: 1
    .uses_dynamic_stack: false
    .vgpr_count:     5
    .vgpr_spill_count: 0
    .wavefront_size: 64
  - .args:
      - .offset:         0
        .size:           4
        .value_kind:     by_value
      - .offset:         4
        .size:           2
        .value_kind:     by_value
      - .offset:         8
        .size:           8
        .value_kind:     by_value
      - .address_space:  global
        .offset:         16
        .size:           8
        .value_kind:     global_buffer
      - .offset:         24
        .size:           8
        .value_kind:     by_value
      - .offset:         32
        .size:           8
        .value_kind:     by_value
      - .address_space:  global
        .offset:         40
        .size:           8
        .value_kind:     global_buffer
      - .offset:         48
        .size:           8
        .value_kind:     by_value
      - .offset:         56
        .size:           8
        .value_kind:     by_value
      - .offset:         64
        .size:           4
        .value_kind:     by_value
    .group_segment_fixed_size: 0
    .kernarg_segment_align: 8
    .kernarg_segment_size: 68
    .language:       OpenCL C
    .language_version:
      - 2
      - 0
    .max_flat_workgroup_size: 256
    .name:           _ZL26rocblas_haxpy_mlt_8_kernelILi256EDF16_PKPK16rocblas_bfloat16PKPS0_EviT0_lT1_llT2_lli
    .private_segment_fixed_size: 0
    .sgpr_count:     20
    .sgpr_spill_count: 0
    .symbol:         _ZL26rocblas_haxpy_mlt_8_kernelILi256EDF16_PKPK16rocblas_bfloat16PKPS0_EviT0_lT1_llT2_lli.kd
    .uniform_work_group_size: 1
    .uses_dynamic_stack: false
    .vgpr_count:     12
    .vgpr_spill_count: 0
    .wavefront_size: 64
  - .args:
      - .offset:         0
        .size:           4
        .value_kind:     by_value
      - .offset:         4
        .size:           2
        .value_kind:     by_value
      - .offset:         8
        .size:           8
        .value_kind:     by_value
      - .address_space:  global
        .offset:         16
        .size:           8
        .value_kind:     global_buffer
      - .offset:         24
        .size:           8
        .value_kind:     by_value
      - .offset:         32
        .size:           8
        .value_kind:     by_value
      - .address_space:  global
        .offset:         40
        .size:           8
        .value_kind:     global_buffer
      - .offset:         48
        .size:           8
        .value_kind:     by_value
      - .offset:         56
        .size:           8
        .value_kind:     by_value
      - .offset:         64
        .size:           4
        .value_kind:     by_value
    .group_segment_fixed_size: 0
    .kernarg_segment_align: 8
    .kernarg_segment_size: 68
    .language:       OpenCL C
    .language_version:
      - 2
      - 0
    .max_flat_workgroup_size: 256
    .name:           _ZL26rocblas_haxpy_mod_8_kernelILi256E16rocblas_bfloat16PKPKS0_PKPS0_EviT0_lT1_llT2_lli
    .private_segment_fixed_size: 0
    .sgpr_count:     20
    .sgpr_spill_count: 0
    .symbol:         _ZL26rocblas_haxpy_mod_8_kernelILi256E16rocblas_bfloat16PKPKS0_PKPS0_EviT0_lT1_llT2_lli.kd
    .uniform_work_group_size: 1
    .uses_dynamic_stack: false
    .vgpr_count:     5
    .vgpr_spill_count: 0
    .wavefront_size: 64
  - .args:
      - .offset:         0
        .size:           4
        .value_kind:     by_value
      - .address_space:  global
        .offset:         8
        .size:           8
        .value_kind:     global_buffer
      - .offset:         16
        .size:           8
        .value_kind:     by_value
      - .actual_access:  read_only
        .address_space:  global
        .offset:         24
        .size:           8
        .value_kind:     global_buffer
      - .offset:         32
        .size:           8
        .value_kind:     by_value
      - .offset:         40
        .size:           8
        .value_kind:     by_value
      - .actual_access:  read_only
        .address_space:  global
        .offset:         48
        .size:           8
        .value_kind:     global_buffer
      - .offset:         56
        .size:           8
        .value_kind:     by_value
      - .offset:         64
        .size:           8
        .value_kind:     by_value
      - .offset:         72
        .size:           4
        .value_kind:     by_value
    .group_segment_fixed_size: 0
    .kernarg_segment_align: 8
    .kernarg_segment_size: 76
    .language:       OpenCL C
    .language_version:
      - 2
      - 0
    .max_flat_workgroup_size: 256
    .name:           _ZL22rocblas_saxpy_2_kernelILi256EfPK16rocblas_bfloat16PKS2_PKPS0_EviT1_lT2_llT3_lli
    .private_segment_fixed_size: 0
    .sgpr_count:     22
    .sgpr_spill_count: 0
    .symbol:         _ZL22rocblas_saxpy_2_kernelILi256EfPK16rocblas_bfloat16PKS2_PKPS0_EviT1_lT2_llT3_lli.kd
    .uniform_work_group_size: 1
    .uses_dynamic_stack: false
    .vgpr_count:     14
    .vgpr_spill_count: 0
    .wavefront_size: 64
  - .args:
      - .offset:         0
        .size:           4
        .value_kind:     by_value
      - .offset:         4
        .size:           2
        .value_kind:     by_value
      - .offset:         8
        .size:           8
        .value_kind:     by_value
      - .actual_access:  read_only
        .address_space:  global
        .offset:         16
        .size:           8
        .value_kind:     global_buffer
      - .offset:         24
        .size:           8
        .value_kind:     by_value
      - .offset:         32
        .size:           8
        .value_kind:     by_value
      - .actual_access:  read_only
        .address_space:  global
        .offset:         40
        .size:           8
        .value_kind:     global_buffer
      - .offset:         48
        .size:           8
        .value_kind:     by_value
      - .offset:         56
        .size:           8
        .value_kind:     by_value
      - .offset:         64
        .size:           4
        .value_kind:     by_value
    .group_segment_fixed_size: 0
    .kernarg_segment_align: 8
    .kernarg_segment_size: 68
    .language:       OpenCL C
    .language_version:
      - 2
      - 0
    .max_flat_workgroup_size: 256
    .name:           _ZL22rocblas_saxpy_2_kernelILi256Ef16rocblas_bfloat16PKPKS0_PKPS0_EviT1_lT2_llT3_lli
    .private_segment_fixed_size: 0
    .sgpr_count:     20
    .sgpr_spill_count: 0
    .symbol:         _ZL22rocblas_saxpy_2_kernelILi256Ef16rocblas_bfloat16PKPKS0_PKPS0_EviT1_lT2_llT3_lli.kd
    .uniform_work_group_size: 1
    .uses_dynamic_stack: false
    .vgpr_count:     12
    .vgpr_spill_count: 0
    .wavefront_size: 64
  - .args:
      - .offset:         0
        .size:           4
        .value_kind:     by_value
      - .address_space:  global
        .offset:         8
        .size:           8
        .value_kind:     global_buffer
      - .offset:         16
        .size:           8
        .value_kind:     by_value
      - .address_space:  global
        .offset:         24
        .size:           8
        .value_kind:     global_buffer
      - .offset:         32
        .size:           8
        .value_kind:     by_value
      - .offset:         40
        .size:           4
        .value_kind:     by_value
      - .offset:         48
        .size:           8
        .value_kind:     by_value
      - .address_space:  global
        .offset:         56
        .size:           8
        .value_kind:     global_buffer
      - .offset:         64
        .size:           8
        .value_kind:     by_value
      - .offset:         72
        .size:           4
        .value_kind:     by_value
      - .offset:         80
        .size:           8
        .value_kind:     by_value
      - .offset:         88
        .size:           4
        .value_kind:     by_value
    .group_segment_fixed_size: 0
    .kernarg_segment_align: 8
    .kernarg_segment_size: 92
    .language:       OpenCL C
    .language_version:
      - 2
      - 0
    .max_flat_workgroup_size: 1024
    .name:           _ZL27rocblas_axpy_kernel_batchedIiLi128ELi8EfPK16rocblas_bfloat16PKS2_PKPS0_EviT3_lT4_lT_lT5_lSA_li
    .private_segment_fixed_size: 0
    .sgpr_count:     24
    .sgpr_spill_count: 0
    .symbol:         _ZL27rocblas_axpy_kernel_batchedIiLi128ELi8EfPK16rocblas_bfloat16PKS2_PKPS0_EviT3_lT4_lT_lT5_lSA_li.kd
    .uniform_work_group_size: 1
    .uses_dynamic_stack: false
    .vgpr_count:     16
    .vgpr_spill_count: 0
    .wavefront_size: 64
  - .args:
      - .offset:         0
        .size:           4
        .value_kind:     by_value
      - .offset:         4
        .size:           2
        .value_kind:     by_value
      - .offset:         8
        .size:           8
        .value_kind:     by_value
      - .address_space:  global
        .offset:         16
        .size:           8
        .value_kind:     global_buffer
      - .offset:         24
        .size:           8
        .value_kind:     by_value
      - .offset:         32
        .size:           4
        .value_kind:     by_value
      - .offset:         40
        .size:           8
        .value_kind:     by_value
      - .address_space:  global
        .offset:         48
        .size:           8
        .value_kind:     global_buffer
      - .offset:         56
        .size:           8
        .value_kind:     by_value
      - .offset:         64
        .size:           4
        .value_kind:     by_value
      - .offset:         72
        .size:           8
        .value_kind:     by_value
      - .offset:         80
        .size:           4
        .value_kind:     by_value
    .group_segment_fixed_size: 0
    .kernarg_segment_align: 8
    .kernarg_segment_size: 84
    .language:       OpenCL C
    .language_version:
      - 2
      - 0
    .max_flat_workgroup_size: 1024
    .name:           _ZL27rocblas_axpy_kernel_batchedIiLi128ELi8Ef16rocblas_bfloat16PKPKS0_PKPS0_EviT3_lT4_lT_lT5_lSA_li
    .private_segment_fixed_size: 0
    .sgpr_count:     22
    .sgpr_spill_count: 0
    .symbol:         _ZL27rocblas_axpy_kernel_batchedIiLi128ELi8Ef16rocblas_bfloat16PKPKS0_PKPS0_EviT3_lT4_lT_lT5_lSA_li.kd
    .uniform_work_group_size: 1
    .uses_dynamic_stack: false
    .vgpr_count:     11
    .vgpr_spill_count: 0
    .wavefront_size: 64
  - .args:
      - .offset:         0
        .size:           4
        .value_kind:     by_value
      - .address_space:  global
        .offset:         8
        .size:           8
        .value_kind:     global_buffer
      - .offset:         16
        .size:           8
        .value_kind:     by_value
      - .actual_access:  read_only
        .address_space:  global
        .offset:         24
        .size:           8
        .value_kind:     global_buffer
      - .offset:         32
        .size:           8
        .value_kind:     by_value
      - .offset:         40
        .size:           4
        .value_kind:     by_value
      - .offset:         48
        .size:           8
        .value_kind:     by_value
      - .actual_access:  read_only
        .address_space:  global
        .offset:         56
        .size:           8
        .value_kind:     global_buffer
      - .offset:         64
        .size:           8
        .value_kind:     by_value
      - .offset:         72
        .size:           4
        .value_kind:     by_value
      - .offset:         80
        .size:           8
        .value_kind:     by_value
      - .offset:         88
        .size:           4
        .value_kind:     by_value
    .group_segment_fixed_size: 0
    .kernarg_segment_align: 8
    .kernarg_segment_size: 92
    .language:       OpenCL C
    .language_version:
      - 2
      - 0
    .max_flat_workgroup_size: 256
    .name:           _ZL19rocblas_axpy_kernelIiLi256EfPK16rocblas_bfloat16PKS2_PKPS0_EviT2_lT3_lT_lT4_lSA_li
    .private_segment_fixed_size: 0
    .sgpr_count:     20
    .sgpr_spill_count: 0
    .symbol:         _ZL19rocblas_axpy_kernelIiLi256EfPK16rocblas_bfloat16PKS2_PKPS0_EviT2_lT3_lT_lT4_lSA_li.kd
    .uniform_work_group_size: 1
    .uses_dynamic_stack: false
    .vgpr_count:     8
    .vgpr_spill_count: 0
    .wavefront_size: 64
  - .args:
      - .offset:         0
        .size:           4
        .value_kind:     by_value
      - .offset:         4
        .size:           2
        .value_kind:     by_value
      - .offset:         8
        .size:           8
        .value_kind:     by_value
      - .actual_access:  read_only
        .address_space:  global
        .offset:         16
        .size:           8
        .value_kind:     global_buffer
      - .offset:         24
        .size:           8
        .value_kind:     by_value
      - .offset:         32
        .size:           4
        .value_kind:     by_value
      - .offset:         40
        .size:           8
        .value_kind:     by_value
      - .actual_access:  read_only
        .address_space:  global
        .offset:         48
        .size:           8
        .value_kind:     global_buffer
      - .offset:         56
        .size:           8
        .value_kind:     by_value
      - .offset:         64
        .size:           4
        .value_kind:     by_value
      - .offset:         72
        .size:           8
        .value_kind:     by_value
      - .offset:         80
        .size:           4
        .value_kind:     by_value
    .group_segment_fixed_size: 0
    .kernarg_segment_align: 8
    .kernarg_segment_size: 84
    .language:       OpenCL C
    .language_version:
      - 2
      - 0
    .max_flat_workgroup_size: 256
    .name:           _ZL19rocblas_axpy_kernelIiLi256Ef16rocblas_bfloat16PKPKS0_PKPS0_EviT2_lT3_lT_lT4_lSA_li
    .private_segment_fixed_size: 0
    .sgpr_count:     22
    .sgpr_spill_count: 0
    .symbol:         _ZL19rocblas_axpy_kernelIiLi256Ef16rocblas_bfloat16PKPKS0_PKPS0_EviT2_lT3_lT_lT4_lSA_li.kd
    .uniform_work_group_size: 1
    .uses_dynamic_stack: false
    .vgpr_count:     7
    .vgpr_spill_count: 0
    .wavefront_size: 64
  - .args:
      - .offset:         0
        .size:           4
        .value_kind:     by_value
      - .address_space:  global
        .offset:         8
        .size:           8
        .value_kind:     global_buffer
      - .offset:         16
        .size:           8
        .value_kind:     by_value
      - .address_space:  global
        .offset:         24
        .size:           8
        .value_kind:     global_buffer
      - .offset:         32
        .size:           8
        .value_kind:     by_value
      - .offset:         40
        .size:           8
        .value_kind:     by_value
      - .address_space:  global
        .offset:         48
        .size:           8
        .value_kind:     global_buffer
      - .offset:         56
        .size:           8
        .value_kind:     by_value
      - .offset:         64
        .size:           8
        .value_kind:     by_value
      - .offset:         72
        .size:           4
        .value_kind:     by_value
    .group_segment_fixed_size: 0
    .kernarg_segment_align: 8
    .kernarg_segment_size: 76
    .language:       OpenCL C
    .language_version:
      - 2
      - 0
    .max_flat_workgroup_size: 256
    .name:           _ZL26rocblas_haxpy_mod_8_kernelILi256EPKfPKPK16rocblas_bfloat16PKPS2_EviT0_lT1_llT2_lli
    .private_segment_fixed_size: 0
    .sgpr_count:     20
    .sgpr_spill_count: 0
    .symbol:         _ZL26rocblas_haxpy_mod_8_kernelILi256EPKfPKPK16rocblas_bfloat16PKPS2_EviT0_lT1_llT2_lli.kd
    .uniform_work_group_size: 1
    .uses_dynamic_stack: false
    .vgpr_count:     5
    .vgpr_spill_count: 0
    .wavefront_size: 64
  - .args:
      - .offset:         0
        .size:           4
        .value_kind:     by_value
      - .offset:         4
        .size:           4
        .value_kind:     by_value
      - .offset:         8
        .size:           8
        .value_kind:     by_value
      - .address_space:  global
        .offset:         16
        .size:           8
        .value_kind:     global_buffer
      - .offset:         24
        .size:           8
        .value_kind:     by_value
      - .offset:         32
        .size:           8
        .value_kind:     by_value
      - .address_space:  global
        .offset:         40
        .size:           8
        .value_kind:     global_buffer
      - .offset:         48
        .size:           8
        .value_kind:     by_value
      - .offset:         56
        .size:           8
        .value_kind:     by_value
      - .offset:         64
        .size:           4
        .value_kind:     by_value
    .group_segment_fixed_size: 0
    .kernarg_segment_align: 8
    .kernarg_segment_size: 68
    .language:       OpenCL C
    .language_version:
      - 2
      - 0
    .max_flat_workgroup_size: 256
    .name:           _ZL26rocblas_haxpy_mod_8_kernelILi256EfPKPK16rocblas_bfloat16PKPS0_EviT0_lT1_llT2_lli
    .private_segment_fixed_size: 0
    .sgpr_count:     20
    .sgpr_spill_count: 0
    .symbol:         _ZL26rocblas_haxpy_mod_8_kernelILi256EfPKPK16rocblas_bfloat16PKPS0_EviT0_lT1_llT2_lli.kd
    .uniform_work_group_size: 1
    .uses_dynamic_stack: false
    .vgpr_count:     5
    .vgpr_spill_count: 0
    .wavefront_size: 64
  - .args:
      - .offset:         0
        .size:           4
        .value_kind:     by_value
      - .address_space:  global
        .offset:         8
        .size:           8
        .value_kind:     global_buffer
      - .offset:         16
        .size:           8
        .value_kind:     by_value
      - .actual_access:  read_only
        .address_space:  global
        .offset:         24
        .size:           8
        .value_kind:     global_buffer
      - .offset:         32
        .size:           8
        .value_kind:     by_value
      - .offset:         40
        .size:           8
        .value_kind:     by_value
      - .actual_access:  read_only
        .address_space:  global
        .offset:         48
        .size:           8
        .value_kind:     global_buffer
      - .offset:         56
        .size:           8
        .value_kind:     by_value
      - .offset:         64
        .size:           8
        .value_kind:     by_value
      - .offset:         72
        .size:           4
        .value_kind:     by_value
    .group_segment_fixed_size: 0
    .kernarg_segment_align: 8
    .kernarg_segment_size: 76
    .language:       OpenCL C
    .language_version:
      - 2
      - 0
    .max_flat_workgroup_size: 256
    .name:           _ZL22rocblas_saxpy_2_kernelILi256EfPKfPKPK16rocblas_bfloat16PKPS2_EviT1_lT2_llT3_lli
    .private_segment_fixed_size: 0
    .sgpr_count:     22
    .sgpr_spill_count: 0
    .symbol:         _ZL22rocblas_saxpy_2_kernelILi256EfPKfPKPK16rocblas_bfloat16PKPS2_EviT1_lT2_llT3_lli.kd
    .uniform_work_group_size: 1
    .uses_dynamic_stack: false
    .vgpr_count:     12
    .vgpr_spill_count: 0
    .wavefront_size: 64
  - .args:
      - .offset:         0
        .size:           4
        .value_kind:     by_value
      - .offset:         4
        .size:           4
        .value_kind:     by_value
      - .offset:         8
        .size:           8
        .value_kind:     by_value
      - .actual_access:  read_only
        .address_space:  global
        .offset:         16
        .size:           8
        .value_kind:     global_buffer
      - .offset:         24
        .size:           8
        .value_kind:     by_value
      - .offset:         32
        .size:           8
        .value_kind:     by_value
      - .actual_access:  read_only
        .address_space:  global
        .offset:         40
        .size:           8
        .value_kind:     global_buffer
      - .offset:         48
        .size:           8
        .value_kind:     by_value
      - .offset:         56
        .size:           8
        .value_kind:     by_value
      - .offset:         64
        .size:           4
        .value_kind:     by_value
    .group_segment_fixed_size: 0
    .kernarg_segment_align: 8
    .kernarg_segment_size: 68
    .language:       OpenCL C
    .language_version:
      - 2
      - 0
    .max_flat_workgroup_size: 256
    .name:           _ZL22rocblas_saxpy_2_kernelILi256EffPKPK16rocblas_bfloat16PKPS0_EviT1_lT2_llT3_lli
    .private_segment_fixed_size: 0
    .sgpr_count:     20
    .sgpr_spill_count: 0
    .symbol:         _ZL22rocblas_saxpy_2_kernelILi256EffPKPK16rocblas_bfloat16PKPS0_EviT1_lT2_llT3_lli.kd
    .uniform_work_group_size: 1
    .uses_dynamic_stack: false
    .vgpr_count:     12
    .vgpr_spill_count: 0
    .wavefront_size: 64
  - .args:
      - .offset:         0
        .size:           4
        .value_kind:     by_value
      - .address_space:  global
        .offset:         8
        .size:           8
        .value_kind:     global_buffer
      - .offset:         16
        .size:           8
        .value_kind:     by_value
      - .address_space:  global
        .offset:         24
        .size:           8
        .value_kind:     global_buffer
      - .offset:         32
        .size:           8
        .value_kind:     by_value
      - .offset:         40
        .size:           4
        .value_kind:     by_value
      - .offset:         48
        .size:           8
        .value_kind:     by_value
      - .address_space:  global
        .offset:         56
        .size:           8
        .value_kind:     global_buffer
      - .offset:         64
        .size:           8
        .value_kind:     by_value
      - .offset:         72
        .size:           4
        .value_kind:     by_value
      - .offset:         80
        .size:           8
        .value_kind:     by_value
      - .offset:         88
        .size:           4
        .value_kind:     by_value
    .group_segment_fixed_size: 0
    .kernarg_segment_align: 8
    .kernarg_segment_size: 92
    .language:       OpenCL C
    .language_version:
      - 2
      - 0
    .max_flat_workgroup_size: 1024
    .name:           _ZL27rocblas_axpy_kernel_batchedIiLi128ELi8EfPKfPKPK16rocblas_bfloat16PKPS2_EviT3_lT4_lT_lT5_lSC_li
    .private_segment_fixed_size: 0
    .sgpr_count:     24
    .sgpr_spill_count: 0
    .symbol:         _ZL27rocblas_axpy_kernel_batchedIiLi128ELi8EfPKfPKPK16rocblas_bfloat16PKPS2_EviT3_lT4_lT_lT5_lSC_li.kd
    .uniform_work_group_size: 1
    .uses_dynamic_stack: false
    .vgpr_count:     16
    .vgpr_spill_count: 0
    .wavefront_size: 64
  - .args:
      - .offset:         0
        .size:           4
        .value_kind:     by_value
      - .offset:         4
        .size:           4
        .value_kind:     by_value
      - .offset:         8
        .size:           8
        .value_kind:     by_value
      - .address_space:  global
        .offset:         16
        .size:           8
        .value_kind:     global_buffer
      - .offset:         24
        .size:           8
        .value_kind:     by_value
      - .offset:         32
        .size:           4
        .value_kind:     by_value
      - .offset:         40
        .size:           8
        .value_kind:     by_value
      - .address_space:  global
        .offset:         48
        .size:           8
        .value_kind:     global_buffer
      - .offset:         56
        .size:           8
        .value_kind:     by_value
      - .offset:         64
        .size:           4
        .value_kind:     by_value
      - .offset:         72
        .size:           8
        .value_kind:     by_value
      - .offset:         80
        .size:           4
        .value_kind:     by_value
    .group_segment_fixed_size: 0
    .kernarg_segment_align: 8
    .kernarg_segment_size: 84
    .language:       OpenCL C
    .language_version:
      - 2
      - 0
    .max_flat_workgroup_size: 1024
    .name:           _ZL27rocblas_axpy_kernel_batchedIiLi128ELi8EffPKPK16rocblas_bfloat16PKPS0_EviT3_lT4_lT_lT5_lSA_li
    .private_segment_fixed_size: 0
    .sgpr_count:     22
    .sgpr_spill_count: 0
    .symbol:         _ZL27rocblas_axpy_kernel_batchedIiLi128ELi8EffPKPK16rocblas_bfloat16PKPS0_EviT3_lT4_lT_lT5_lSA_li.kd
    .uniform_work_group_size: 1
    .uses_dynamic_stack: false
    .vgpr_count:     11
    .vgpr_spill_count: 0
    .wavefront_size: 64
  - .args:
      - .offset:         0
        .size:           4
        .value_kind:     by_value
      - .address_space:  global
        .offset:         8
        .size:           8
        .value_kind:     global_buffer
      - .offset:         16
        .size:           8
        .value_kind:     by_value
      - .actual_access:  read_only
        .address_space:  global
        .offset:         24
        .size:           8
        .value_kind:     global_buffer
      - .offset:         32
        .size:           8
        .value_kind:     by_value
      - .offset:         40
        .size:           4
        .value_kind:     by_value
      - .offset:         48
        .size:           8
        .value_kind:     by_value
      - .actual_access:  read_only
        .address_space:  global
        .offset:         56
        .size:           8
        .value_kind:     global_buffer
      - .offset:         64
        .size:           8
        .value_kind:     by_value
      - .offset:         72
        .size:           4
        .value_kind:     by_value
      - .offset:         80
        .size:           8
        .value_kind:     by_value
      - .offset:         88
        .size:           4
        .value_kind:     by_value
    .group_segment_fixed_size: 0
    .kernarg_segment_align: 8
    .kernarg_segment_size: 92
    .language:       OpenCL C
    .language_version:
      - 2
      - 0
    .max_flat_workgroup_size: 256
    .name:           _ZL19rocblas_axpy_kernelIiLi256EfPKfPKPK16rocblas_bfloat16PKPS2_EviT2_lT3_lT_lT4_lSC_li
    .private_segment_fixed_size: 0
    .sgpr_count:     22
    .sgpr_spill_count: 0
    .symbol:         _ZL19rocblas_axpy_kernelIiLi256EfPKfPKPK16rocblas_bfloat16PKPS2_EviT2_lT3_lT_lT4_lSC_li.kd
    .uniform_work_group_size: 1
    .uses_dynamic_stack: false
    .vgpr_count:     7
    .vgpr_spill_count: 0
    .wavefront_size: 64
  - .args:
      - .offset:         0
        .size:           4
        .value_kind:     by_value
      - .offset:         4
        .size:           4
        .value_kind:     by_value
      - .offset:         8
        .size:           8
        .value_kind:     by_value
      - .actual_access:  read_only
        .address_space:  global
        .offset:         16
        .size:           8
        .value_kind:     global_buffer
      - .offset:         24
        .size:           8
        .value_kind:     by_value
      - .offset:         32
        .size:           4
        .value_kind:     by_value
      - .offset:         40
        .size:           8
        .value_kind:     by_value
      - .actual_access:  read_only
        .address_space:  global
        .offset:         48
        .size:           8
        .value_kind:     global_buffer
      - .offset:         56
        .size:           8
        .value_kind:     by_value
      - .offset:         64
        .size:           4
        .value_kind:     by_value
      - .offset:         72
        .size:           8
        .value_kind:     by_value
      - .offset:         80
        .size:           4
        .value_kind:     by_value
    .group_segment_fixed_size: 0
    .kernarg_segment_align: 8
    .kernarg_segment_size: 84
    .language:       OpenCL C
    .language_version:
      - 2
      - 0
    .max_flat_workgroup_size: 256
    .name:           _ZL19rocblas_axpy_kernelIiLi256EffPKPK16rocblas_bfloat16PKPS0_EviT2_lT3_lT_lT4_lSA_li
    .private_segment_fixed_size: 0
    .sgpr_count:     22
    .sgpr_spill_count: 0
    .symbol:         _ZL19rocblas_axpy_kernelIiLi256EffPKPK16rocblas_bfloat16PKPS0_EviT2_lT3_lT_lT4_lSA_li.kd
    .uniform_work_group_size: 1
    .uses_dynamic_stack: false
    .vgpr_count:     7
    .vgpr_spill_count: 0
    .wavefront_size: 64
  - .args:
      - .offset:         0
        .size:           4
        .value_kind:     by_value
      - .address_space:  global
        .offset:         8
        .size:           8
        .value_kind:     global_buffer
      - .offset:         16
        .size:           8
        .value_kind:     by_value
      - .address_space:  global
        .offset:         24
        .size:           8
        .value_kind:     global_buffer
      - .offset:         32
        .size:           8
        .value_kind:     by_value
      - .offset:         40
        .size:           8
        .value_kind:     by_value
      - .address_space:  global
        .offset:         48
        .size:           8
        .value_kind:     global_buffer
      - .offset:         56
        .size:           8
        .value_kind:     by_value
      - .offset:         64
        .size:           8
        .value_kind:     by_value
      - .offset:         72
        .size:           4
        .value_kind:     by_value
    .group_segment_fixed_size: 0
    .kernarg_segment_align: 8
    .kernarg_segment_size: 76
    .language:       OpenCL C
    .language_version:
      - 2
      - 0
    .max_flat_workgroup_size: 256
    .name:           _ZL26rocblas_haxpy_mlt_8_kernelILi256EPKDF16_PKS1_PKPDF16_EviT0_lT1_llT2_lli
    .private_segment_fixed_size: 0
    .sgpr_count:     20
    .sgpr_spill_count: 0
    .symbol:         _ZL26rocblas_haxpy_mlt_8_kernelILi256EPKDF16_PKS1_PKPDF16_EviT0_lT1_llT2_lli.kd
    .uniform_work_group_size: 1
    .uses_dynamic_stack: false
    .vgpr_count:     13
    .vgpr_spill_count: 0
    .wavefront_size: 64
  - .args:
      - .offset:         0
        .size:           4
        .value_kind:     by_value
      - .address_space:  global
        .offset:         8
        .size:           8
        .value_kind:     global_buffer
      - .offset:         16
        .size:           8
        .value_kind:     by_value
      - .address_space:  global
        .offset:         24
        .size:           8
        .value_kind:     global_buffer
      - .offset:         32
        .size:           8
        .value_kind:     by_value
      - .offset:         40
        .size:           8
        .value_kind:     by_value
      - .address_space:  global
        .offset:         48
        .size:           8
        .value_kind:     global_buffer
      - .offset:         56
        .size:           8
        .value_kind:     by_value
      - .offset:         64
        .size:           8
        .value_kind:     by_value
      - .offset:         72
        .size:           4
        .value_kind:     by_value
    .group_segment_fixed_size: 0
    .kernarg_segment_align: 8
    .kernarg_segment_size: 76
    .language:       OpenCL C
    .language_version:
      - 2
      - 0
    .max_flat_workgroup_size: 256
    .name:           _ZL26rocblas_haxpy_mod_8_kernelILi256EPKDF16_PKS1_PKPDF16_EviT0_lT1_llT2_lli
    .private_segment_fixed_size: 0
    .sgpr_count:     20
    .sgpr_spill_count: 0
    .symbol:         _ZL26rocblas_haxpy_mod_8_kernelILi256EPKDF16_PKS1_PKPDF16_EviT0_lT1_llT2_lli.kd
    .uniform_work_group_size: 1
    .uses_dynamic_stack: false
    .vgpr_count:     7
    .vgpr_spill_count: 0
    .wavefront_size: 64
  - .args:
      - .offset:         0
        .size:           4
        .value_kind:     by_value
      - .offset:         4
        .size:           2
        .value_kind:     by_value
      - .offset:         8
        .size:           8
        .value_kind:     by_value
      - .address_space:  global
        .offset:         16
        .size:           8
        .value_kind:     global_buffer
      - .offset:         24
        .size:           8
        .value_kind:     by_value
      - .offset:         32
        .size:           8
        .value_kind:     by_value
      - .address_space:  global
        .offset:         40
        .size:           8
        .value_kind:     global_buffer
      - .offset:         48
        .size:           8
        .value_kind:     by_value
      - .offset:         56
        .size:           8
        .value_kind:     by_value
      - .offset:         64
        .size:           4
        .value_kind:     by_value
    .group_segment_fixed_size: 0
    .kernarg_segment_align: 8
    .kernarg_segment_size: 68
    .language:       OpenCL C
    .language_version:
      - 2
      - 0
    .max_flat_workgroup_size: 256
    .name:           _ZL26rocblas_haxpy_mlt_8_kernelILi256EDF16_PKPKDF16_PKPDF16_EviT0_lT1_llT2_lli
    .private_segment_fixed_size: 0
    .sgpr_count:     20
    .sgpr_spill_count: 0
    .symbol:         _ZL26rocblas_haxpy_mlt_8_kernelILi256EDF16_PKPKDF16_PKPDF16_EviT0_lT1_llT2_lli.kd
    .uniform_work_group_size: 1
    .uses_dynamic_stack: false
    .vgpr_count:     12
    .vgpr_spill_count: 0
    .wavefront_size: 64
  - .args:
      - .offset:         0
        .size:           4
        .value_kind:     by_value
      - .offset:         4
        .size:           2
        .value_kind:     by_value
      - .offset:         8
        .size:           8
        .value_kind:     by_value
      - .address_space:  global
        .offset:         16
        .size:           8
        .value_kind:     global_buffer
      - .offset:         24
        .size:           8
        .value_kind:     by_value
      - .offset:         32
        .size:           8
        .value_kind:     by_value
      - .address_space:  global
        .offset:         40
        .size:           8
        .value_kind:     global_buffer
      - .offset:         48
        .size:           8
        .value_kind:     by_value
      - .offset:         56
        .size:           8
        .value_kind:     by_value
      - .offset:         64
        .size:           4
        .value_kind:     by_value
    .group_segment_fixed_size: 0
    .kernarg_segment_align: 8
    .kernarg_segment_size: 68
    .language:       OpenCL C
    .language_version:
      - 2
      - 0
    .max_flat_workgroup_size: 256
    .name:           _ZL26rocblas_haxpy_mod_8_kernelILi256EDF16_PKPKDF16_PKPDF16_EviT0_lT1_llT2_lli
    .private_segment_fixed_size: 0
    .sgpr_count:     20
    .sgpr_spill_count: 0
    .symbol:         _ZL26rocblas_haxpy_mod_8_kernelILi256EDF16_PKPKDF16_PKPDF16_EviT0_lT1_llT2_lli.kd
    .uniform_work_group_size: 1
    .uses_dynamic_stack: false
    .vgpr_count:     6
    .vgpr_spill_count: 0
    .wavefront_size: 64
  - .args:
      - .offset:         0
        .size:           4
        .value_kind:     by_value
      - .address_space:  global
        .offset:         8
        .size:           8
        .value_kind:     global_buffer
      - .offset:         16
        .size:           8
        .value_kind:     by_value
      - .actual_access:  read_only
        .address_space:  global
        .offset:         24
        .size:           8
        .value_kind:     global_buffer
      - .offset:         32
        .size:           8
        .value_kind:     by_value
      - .offset:         40
        .size:           8
        .value_kind:     by_value
      - .actual_access:  read_only
        .address_space:  global
        .offset:         48
        .size:           8
        .value_kind:     global_buffer
      - .offset:         56
        .size:           8
        .value_kind:     by_value
      - .offset:         64
        .size:           8
        .value_kind:     by_value
      - .offset:         72
        .size:           4
        .value_kind:     by_value
    .group_segment_fixed_size: 0
    .kernarg_segment_align: 8
    .kernarg_segment_size: 76
    .language:       OpenCL C
    .language_version:
      - 2
      - 0
    .max_flat_workgroup_size: 256
    .name:           _ZL22rocblas_saxpy_2_kernelILi256EfPKDF16_PKS1_PKPDF16_EviT1_lT2_llT3_lli
    .private_segment_fixed_size: 0
    .sgpr_count:     20
    .sgpr_spill_count: 0
    .symbol:         _ZL22rocblas_saxpy_2_kernelILi256EfPKDF16_PKS1_PKPDF16_EviT1_lT2_llT3_lli.kd
    .uniform_work_group_size: 1
    .uses_dynamic_stack: false
    .vgpr_count:     11
    .vgpr_spill_count: 0
    .wavefront_size: 64
  - .args:
      - .offset:         0
        .size:           4
        .value_kind:     by_value
      - .offset:         4
        .size:           2
        .value_kind:     by_value
      - .offset:         8
        .size:           8
        .value_kind:     by_value
      - .actual_access:  read_only
        .address_space:  global
        .offset:         16
        .size:           8
        .value_kind:     global_buffer
      - .offset:         24
        .size:           8
        .value_kind:     by_value
      - .offset:         32
        .size:           8
        .value_kind:     by_value
      - .actual_access:  read_only
        .address_space:  global
        .offset:         40
        .size:           8
        .value_kind:     global_buffer
      - .offset:         48
        .size:           8
        .value_kind:     by_value
      - .offset:         56
        .size:           8
        .value_kind:     by_value
      - .offset:         64
        .size:           4
        .value_kind:     by_value
    .group_segment_fixed_size: 0
    .kernarg_segment_align: 8
    .kernarg_segment_size: 68
    .language:       OpenCL C
    .language_version:
      - 2
      - 0
    .max_flat_workgroup_size: 256
    .name:           _ZL22rocblas_saxpy_2_kernelILi256EfDF16_PKPKDF16_PKPDF16_EviT1_lT2_llT3_lli
    .private_segment_fixed_size: 0
    .sgpr_count:     20
    .sgpr_spill_count: 0
    .symbol:         _ZL22rocblas_saxpy_2_kernelILi256EfDF16_PKPKDF16_PKPDF16_EviT1_lT2_llT3_lli.kd
    .uniform_work_group_size: 1
    .uses_dynamic_stack: false
    .vgpr_count:     10
    .vgpr_spill_count: 0
    .wavefront_size: 64
  - .args:
      - .offset:         0
        .size:           4
        .value_kind:     by_value
      - .address_space:  global
        .offset:         8
        .size:           8
        .value_kind:     global_buffer
      - .offset:         16
        .size:           8
        .value_kind:     by_value
      - .address_space:  global
        .offset:         24
        .size:           8
        .value_kind:     global_buffer
      - .offset:         32
        .size:           8
        .value_kind:     by_value
      - .offset:         40
        .size:           4
        .value_kind:     by_value
      - .offset:         48
        .size:           8
        .value_kind:     by_value
      - .address_space:  global
        .offset:         56
        .size:           8
        .value_kind:     global_buffer
      - .offset:         64
        .size:           8
        .value_kind:     by_value
      - .offset:         72
        .size:           4
        .value_kind:     by_value
      - .offset:         80
        .size:           8
        .value_kind:     by_value
      - .offset:         88
        .size:           4
        .value_kind:     by_value
    .group_segment_fixed_size: 0
    .kernarg_segment_align: 8
    .kernarg_segment_size: 92
    .language:       OpenCL C
    .language_version:
      - 2
      - 0
    .max_flat_workgroup_size: 1024
    .name:           _ZL27rocblas_axpy_kernel_batchedIiLi128ELi8EfPKDF16_PKS1_PKPDF16_EviT3_lT4_lT_lT5_lS9_li
    .private_segment_fixed_size: 0
    .sgpr_count:     24
    .sgpr_spill_count: 0
    .symbol:         _ZL27rocblas_axpy_kernel_batchedIiLi128ELi8EfPKDF16_PKS1_PKPDF16_EviT3_lT4_lT_lT5_lS9_li.kd
    .uniform_work_group_size: 1
    .uses_dynamic_stack: false
    .vgpr_count:     16
    .vgpr_spill_count: 0
    .wavefront_size: 64
  - .args:
      - .offset:         0
        .size:           4
        .value_kind:     by_value
      - .offset:         4
        .size:           2
        .value_kind:     by_value
      - .offset:         8
        .size:           8
        .value_kind:     by_value
      - .address_space:  global
        .offset:         16
        .size:           8
        .value_kind:     global_buffer
      - .offset:         24
        .size:           8
        .value_kind:     by_value
      - .offset:         32
        .size:           4
        .value_kind:     by_value
      - .offset:         40
        .size:           8
        .value_kind:     by_value
      - .address_space:  global
        .offset:         48
        .size:           8
        .value_kind:     global_buffer
      - .offset:         56
        .size:           8
        .value_kind:     by_value
      - .offset:         64
        .size:           4
        .value_kind:     by_value
      - .offset:         72
        .size:           8
        .value_kind:     by_value
      - .offset:         80
        .size:           4
        .value_kind:     by_value
    .group_segment_fixed_size: 0
    .kernarg_segment_align: 8
    .kernarg_segment_size: 84
    .language:       OpenCL C
    .language_version:
      - 2
      - 0
    .max_flat_workgroup_size: 1024
    .name:           _ZL27rocblas_axpy_kernel_batchedIiLi128ELi8EfDF16_PKPKDF16_PKPDF16_EviT3_lT4_lT_lT5_lS9_li
    .private_segment_fixed_size: 0
    .sgpr_count:     22
    .sgpr_spill_count: 0
    .symbol:         _ZL27rocblas_axpy_kernel_batchedIiLi128ELi8EfDF16_PKPKDF16_PKPDF16_EviT3_lT4_lT_lT5_lS9_li.kd
    .uniform_work_group_size: 1
    .uses_dynamic_stack: false
    .vgpr_count:     12
    .vgpr_spill_count: 0
    .wavefront_size: 64
  - .args:
      - .offset:         0
        .size:           4
        .value_kind:     by_value
      - .address_space:  global
        .offset:         8
        .size:           8
        .value_kind:     global_buffer
      - .offset:         16
        .size:           8
        .value_kind:     by_value
      - .actual_access:  read_only
        .address_space:  global
        .offset:         24
        .size:           8
        .value_kind:     global_buffer
      - .offset:         32
        .size:           8
        .value_kind:     by_value
      - .offset:         40
        .size:           4
        .value_kind:     by_value
      - .offset:         48
        .size:           8
        .value_kind:     by_value
      - .actual_access:  read_only
        .address_space:  global
        .offset:         56
        .size:           8
        .value_kind:     global_buffer
      - .offset:         64
        .size:           8
        .value_kind:     by_value
      - .offset:         72
        .size:           4
        .value_kind:     by_value
      - .offset:         80
        .size:           8
        .value_kind:     by_value
      - .offset:         88
        .size:           4
        .value_kind:     by_value
    .group_segment_fixed_size: 0
    .kernarg_segment_align: 8
    .kernarg_segment_size: 92
    .language:       OpenCL C
    .language_version:
      - 2
      - 0
    .max_flat_workgroup_size: 256
    .name:           _ZL19rocblas_axpy_kernelIiLi256EfPKDF16_PKS1_PKPDF16_EviT2_lT3_lT_lT4_lS9_li
    .private_segment_fixed_size: 0
    .sgpr_count:     20
    .sgpr_spill_count: 0
    .symbol:         _ZL19rocblas_axpy_kernelIiLi256EfPKDF16_PKS1_PKPDF16_EviT2_lT3_lT_lT4_lS9_li.kd
    .uniform_work_group_size: 1
    .uses_dynamic_stack: false
    .vgpr_count:     8
    .vgpr_spill_count: 0
    .wavefront_size: 64
  - .args:
      - .offset:         0
        .size:           4
        .value_kind:     by_value
      - .offset:         4
        .size:           2
        .value_kind:     by_value
      - .offset:         8
        .size:           8
        .value_kind:     by_value
      - .actual_access:  read_only
        .address_space:  global
        .offset:         16
        .size:           8
        .value_kind:     global_buffer
      - .offset:         24
        .size:           8
        .value_kind:     by_value
      - .offset:         32
        .size:           4
        .value_kind:     by_value
      - .offset:         40
        .size:           8
        .value_kind:     by_value
      - .actual_access:  read_only
        .address_space:  global
        .offset:         48
        .size:           8
        .value_kind:     global_buffer
      - .offset:         56
        .size:           8
        .value_kind:     by_value
      - .offset:         64
        .size:           4
        .value_kind:     by_value
      - .offset:         72
        .size:           8
        .value_kind:     by_value
      - .offset:         80
        .size:           4
        .value_kind:     by_value
    .group_segment_fixed_size: 0
    .kernarg_segment_align: 8
    .kernarg_segment_size: 84
    .language:       OpenCL C
    .language_version:
      - 2
      - 0
    .max_flat_workgroup_size: 256
    .name:           _ZL19rocblas_axpy_kernelIiLi256EfDF16_PKPKDF16_PKPDF16_EviT2_lT3_lT_lT4_lS9_li
    .private_segment_fixed_size: 0
    .sgpr_count:     22
    .sgpr_spill_count: 0
    .symbol:         _ZL19rocblas_axpy_kernelIiLi256EfDF16_PKPKDF16_PKPDF16_EviT2_lT3_lT_lT4_lS9_li.kd
    .uniform_work_group_size: 1
    .uses_dynamic_stack: false
    .vgpr_count:     7
    .vgpr_spill_count: 0
    .wavefront_size: 64
  - .args:
      - .offset:         0
        .size:           4
        .value_kind:     by_value
      - .address_space:  global
        .offset:         8
        .size:           8
        .value_kind:     global_buffer
      - .offset:         16
        .size:           8
        .value_kind:     by_value
      - .address_space:  global
        .offset:         24
        .size:           8
        .value_kind:     global_buffer
      - .offset:         32
        .size:           8
        .value_kind:     by_value
      - .offset:         40
        .size:           8
        .value_kind:     by_value
      - .address_space:  global
        .offset:         48
        .size:           8
        .value_kind:     global_buffer
      - .offset:         56
        .size:           8
        .value_kind:     by_value
      - .offset:         64
        .size:           8
        .value_kind:     by_value
      - .offset:         72
        .size:           4
        .value_kind:     by_value
    .group_segment_fixed_size: 0
    .kernarg_segment_align: 8
    .kernarg_segment_size: 76
    .language:       OpenCL C
    .language_version:
      - 2
      - 0
    .max_flat_workgroup_size: 256
    .name:           _ZL26rocblas_haxpy_mod_8_kernelILi256EPKfPKPKDF16_PKPDF16_EviT0_lT1_llT2_lli
    .private_segment_fixed_size: 0
    .sgpr_count:     22
    .sgpr_spill_count: 0
    .symbol:         _ZL26rocblas_haxpy_mod_8_kernelILi256EPKfPKPKDF16_PKPDF16_EviT0_lT1_llT2_lli.kd
    .uniform_work_group_size: 1
    .uses_dynamic_stack: false
    .vgpr_count:     6
    .vgpr_spill_count: 0
    .wavefront_size: 64
  - .args:
      - .offset:         0
        .size:           4
        .value_kind:     by_value
      - .offset:         4
        .size:           4
        .value_kind:     by_value
      - .offset:         8
        .size:           8
        .value_kind:     by_value
      - .address_space:  global
        .offset:         16
        .size:           8
        .value_kind:     global_buffer
      - .offset:         24
        .size:           8
        .value_kind:     by_value
      - .offset:         32
        .size:           8
        .value_kind:     by_value
      - .address_space:  global
        .offset:         40
        .size:           8
        .value_kind:     global_buffer
      - .offset:         48
        .size:           8
        .value_kind:     by_value
      - .offset:         56
        .size:           8
        .value_kind:     by_value
      - .offset:         64
        .size:           4
        .value_kind:     by_value
    .group_segment_fixed_size: 0
    .kernarg_segment_align: 8
    .kernarg_segment_size: 68
    .language:       OpenCL C
    .language_version:
      - 2
      - 0
    .max_flat_workgroup_size: 256
    .name:           _ZL26rocblas_haxpy_mod_8_kernelILi256EfPKPKDF16_PKPDF16_EviT0_lT1_llT2_lli
    .private_segment_fixed_size: 0
    .sgpr_count:     20
    .sgpr_spill_count: 0
    .symbol:         _ZL26rocblas_haxpy_mod_8_kernelILi256EfPKPKDF16_PKPDF16_EviT0_lT1_llT2_lli.kd
    .uniform_work_group_size: 1
    .uses_dynamic_stack: false
    .vgpr_count:     6
    .vgpr_spill_count: 0
    .wavefront_size: 64
  - .args:
      - .offset:         0
        .size:           4
        .value_kind:     by_value
      - .address_space:  global
        .offset:         8
        .size:           8
        .value_kind:     global_buffer
      - .offset:         16
        .size:           8
        .value_kind:     by_value
      - .actual_access:  read_only
        .address_space:  global
        .offset:         24
        .size:           8
        .value_kind:     global_buffer
      - .offset:         32
        .size:           8
        .value_kind:     by_value
      - .offset:         40
        .size:           8
        .value_kind:     by_value
      - .actual_access:  read_only
        .address_space:  global
        .offset:         48
        .size:           8
        .value_kind:     global_buffer
      - .offset:         56
        .size:           8
        .value_kind:     by_value
      - .offset:         64
        .size:           8
        .value_kind:     by_value
      - .offset:         72
        .size:           4
        .value_kind:     by_value
    .group_segment_fixed_size: 0
    .kernarg_segment_align: 8
    .kernarg_segment_size: 76
    .language:       OpenCL C
    .language_version:
      - 2
      - 0
    .max_flat_workgroup_size: 256
    .name:           _ZL22rocblas_saxpy_2_kernelILi256EfPKfPKPKDF16_PKPDF16_EviT1_lT2_llT3_lli
    .private_segment_fixed_size: 0
    .sgpr_count:     22
    .sgpr_spill_count: 0
    .symbol:         _ZL22rocblas_saxpy_2_kernelILi256EfPKfPKPKDF16_PKPDF16_EviT1_lT2_llT3_lli.kd
    .uniform_work_group_size: 1
    .uses_dynamic_stack: false
    .vgpr_count:     10
    .vgpr_spill_count: 0
    .wavefront_size: 64
  - .args:
      - .offset:         0
        .size:           4
        .value_kind:     by_value
      - .offset:         4
        .size:           4
        .value_kind:     by_value
      - .offset:         8
        .size:           8
        .value_kind:     by_value
      - .actual_access:  read_only
        .address_space:  global
        .offset:         16
        .size:           8
        .value_kind:     global_buffer
      - .offset:         24
        .size:           8
        .value_kind:     by_value
      - .offset:         32
        .size:           8
        .value_kind:     by_value
      - .actual_access:  read_only
        .address_space:  global
        .offset:         40
        .size:           8
        .value_kind:     global_buffer
      - .offset:         48
        .size:           8
        .value_kind:     by_value
      - .offset:         56
        .size:           8
        .value_kind:     by_value
      - .offset:         64
        .size:           4
        .value_kind:     by_value
    .group_segment_fixed_size: 0
    .kernarg_segment_align: 8
    .kernarg_segment_size: 68
    .language:       OpenCL C
    .language_version:
      - 2
      - 0
    .max_flat_workgroup_size: 256
    .name:           _ZL22rocblas_saxpy_2_kernelILi256EffPKPKDF16_PKPDF16_EviT1_lT2_llT3_lli
    .private_segment_fixed_size: 0
    .sgpr_count:     20
    .sgpr_spill_count: 0
    .symbol:         _ZL22rocblas_saxpy_2_kernelILi256EffPKPKDF16_PKPDF16_EviT1_lT2_llT3_lli.kd
    .uniform_work_group_size: 1
    .uses_dynamic_stack: false
    .vgpr_count:     10
    .vgpr_spill_count: 0
    .wavefront_size: 64
  - .args:
      - .offset:         0
        .size:           4
        .value_kind:     by_value
      - .address_space:  global
        .offset:         8
        .size:           8
        .value_kind:     global_buffer
      - .offset:         16
        .size:           8
        .value_kind:     by_value
      - .address_space:  global
        .offset:         24
        .size:           8
        .value_kind:     global_buffer
      - .offset:         32
        .size:           8
        .value_kind:     by_value
      - .offset:         40
        .size:           4
        .value_kind:     by_value
      - .offset:         48
        .size:           8
        .value_kind:     by_value
      - .address_space:  global
        .offset:         56
        .size:           8
        .value_kind:     global_buffer
      - .offset:         64
        .size:           8
        .value_kind:     by_value
      - .offset:         72
        .size:           4
        .value_kind:     by_value
      - .offset:         80
        .size:           8
        .value_kind:     by_value
      - .offset:         88
        .size:           4
        .value_kind:     by_value
    .group_segment_fixed_size: 0
    .kernarg_segment_align: 8
    .kernarg_segment_size: 92
    .language:       OpenCL C
    .language_version:
      - 2
      - 0
    .max_flat_workgroup_size: 1024
    .name:           _ZL27rocblas_axpy_kernel_batchedIiLi128ELi8EfPKfPKPKDF16_PKPDF16_EviT3_lT4_lT_lT5_lSB_li
    .private_segment_fixed_size: 0
    .sgpr_count:     24
    .sgpr_spill_count: 0
    .symbol:         _ZL27rocblas_axpy_kernel_batchedIiLi128ELi8EfPKfPKPKDF16_PKPDF16_EviT3_lT4_lT_lT5_lSB_li.kd
    .uniform_work_group_size: 1
    .uses_dynamic_stack: false
    .vgpr_count:     16
    .vgpr_spill_count: 0
    .wavefront_size: 64
  - .args:
      - .offset:         0
        .size:           4
        .value_kind:     by_value
      - .offset:         4
        .size:           4
        .value_kind:     by_value
      - .offset:         8
        .size:           8
        .value_kind:     by_value
      - .address_space:  global
        .offset:         16
        .size:           8
        .value_kind:     global_buffer
      - .offset:         24
        .size:           8
        .value_kind:     by_value
      - .offset:         32
        .size:           4
        .value_kind:     by_value
      - .offset:         40
        .size:           8
        .value_kind:     by_value
      - .address_space:  global
        .offset:         48
        .size:           8
        .value_kind:     global_buffer
      - .offset:         56
        .size:           8
        .value_kind:     by_value
      - .offset:         64
        .size:           4
        .value_kind:     by_value
      - .offset:         72
        .size:           8
        .value_kind:     by_value
      - .offset:         80
        .size:           4
        .value_kind:     by_value
    .group_segment_fixed_size: 0
    .kernarg_segment_align: 8
    .kernarg_segment_size: 84
    .language:       OpenCL C
    .language_version:
      - 2
      - 0
    .max_flat_workgroup_size: 1024
    .name:           _ZL27rocblas_axpy_kernel_batchedIiLi128ELi8EffPKPKDF16_PKPDF16_EviT3_lT4_lT_lT5_lS9_li
    .private_segment_fixed_size: 0
    .sgpr_count:     22
    .sgpr_spill_count: 0
    .symbol:         _ZL27rocblas_axpy_kernel_batchedIiLi128ELi8EffPKPKDF16_PKPDF16_EviT3_lT4_lT_lT5_lS9_li.kd
    .uniform_work_group_size: 1
    .uses_dynamic_stack: false
    .vgpr_count:     11
    .vgpr_spill_count: 0
    .wavefront_size: 64
  - .args:
      - .offset:         0
        .size:           4
        .value_kind:     by_value
      - .address_space:  global
        .offset:         8
        .size:           8
        .value_kind:     global_buffer
      - .offset:         16
        .size:           8
        .value_kind:     by_value
      - .actual_access:  read_only
        .address_space:  global
        .offset:         24
        .size:           8
        .value_kind:     global_buffer
      - .offset:         32
        .size:           8
        .value_kind:     by_value
      - .offset:         40
        .size:           4
        .value_kind:     by_value
      - .offset:         48
        .size:           8
        .value_kind:     by_value
      - .actual_access:  read_only
        .address_space:  global
        .offset:         56
        .size:           8
        .value_kind:     global_buffer
      - .offset:         64
        .size:           8
        .value_kind:     by_value
      - .offset:         72
        .size:           4
        .value_kind:     by_value
      - .offset:         80
        .size:           8
        .value_kind:     by_value
      - .offset:         88
        .size:           4
        .value_kind:     by_value
    .group_segment_fixed_size: 0
    .kernarg_segment_align: 8
    .kernarg_segment_size: 92
    .language:       OpenCL C
    .language_version:
      - 2
      - 0
    .max_flat_workgroup_size: 256
    .name:           _ZL19rocblas_axpy_kernelIiLi256EfPKfPKPKDF16_PKPDF16_EviT2_lT3_lT_lT4_lSB_li
    .private_segment_fixed_size: 0
    .sgpr_count:     22
    .sgpr_spill_count: 0
    .symbol:         _ZL19rocblas_axpy_kernelIiLi256EfPKfPKPKDF16_PKPDF16_EviT2_lT3_lT_lT4_lSB_li.kd
    .uniform_work_group_size: 1
    .uses_dynamic_stack: false
    .vgpr_count:     7
    .vgpr_spill_count: 0
    .wavefront_size: 64
  - .args:
      - .offset:         0
        .size:           4
        .value_kind:     by_value
      - .offset:         4
        .size:           4
        .value_kind:     by_value
      - .offset:         8
        .size:           8
        .value_kind:     by_value
      - .actual_access:  read_only
        .address_space:  global
        .offset:         16
        .size:           8
        .value_kind:     global_buffer
      - .offset:         24
        .size:           8
        .value_kind:     by_value
      - .offset:         32
        .size:           4
        .value_kind:     by_value
      - .offset:         40
        .size:           8
        .value_kind:     by_value
      - .actual_access:  read_only
        .address_space:  global
        .offset:         48
        .size:           8
        .value_kind:     global_buffer
      - .offset:         56
        .size:           8
        .value_kind:     by_value
      - .offset:         64
        .size:           4
        .value_kind:     by_value
      - .offset:         72
        .size:           8
        .value_kind:     by_value
      - .offset:         80
        .size:           4
        .value_kind:     by_value
    .group_segment_fixed_size: 0
    .kernarg_segment_align: 8
    .kernarg_segment_size: 84
    .language:       OpenCL C
    .language_version:
      - 2
      - 0
    .max_flat_workgroup_size: 256
    .name:           _ZL19rocblas_axpy_kernelIiLi256EffPKPKDF16_PKPDF16_EviT2_lT3_lT_lT4_lS9_li
    .private_segment_fixed_size: 0
    .sgpr_count:     22
    .sgpr_spill_count: 0
    .symbol:         _ZL19rocblas_axpy_kernelIiLi256EffPKPKDF16_PKPDF16_EviT2_lT3_lT_lT4_lS9_li.kd
    .uniform_work_group_size: 1
    .uses_dynamic_stack: false
    .vgpr_count:     7
    .vgpr_spill_count: 0
    .wavefront_size: 64
amdhsa.target:   amdgcn-amd-amdhsa--gfx906
amdhsa.version:
  - 1
  - 2
...

	.end_amdgpu_metadata
